;; amdgpu-corpus repo=ROCm/rocFFT kind=compiled arch=gfx1201 opt=O3
	.text
	.amdgcn_target "amdgcn-amd-amdhsa--gfx1201"
	.amdhsa_code_object_version 6
	.protected	bluestein_single_back_len672_dim1_dp_op_CI_CI ; -- Begin function bluestein_single_back_len672_dim1_dp_op_CI_CI
	.globl	bluestein_single_back_len672_dim1_dp_op_CI_CI
	.p2align	8
	.type	bluestein_single_back_len672_dim1_dp_op_CI_CI,@function
bluestein_single_back_len672_dim1_dp_op_CI_CI: ; @bluestein_single_back_len672_dim1_dp_op_CI_CI
; %bb.0:
	s_load_b128 s[16:19], s[0:1], 0x28
	v_mul_u32_u24_e32 v1, 0x493, v0
	s_mov_b32 s2, exec_lo
	v_mov_b32_e32 v177, 0
	s_delay_alu instid0(VALU_DEP_2) | instskip(NEXT) | instid1(VALU_DEP_1)
	v_lshrrev_b32_e32 v1, 16, v1
	v_add_nc_u32_e32 v176, ttmp9, v1
	s_wait_kmcnt 0x0
	s_delay_alu instid0(VALU_DEP_1)
	v_cmpx_gt_u64_e64 s[16:17], v[176:177]
	s_cbranch_execz .LBB0_10
; %bb.1:
	s_clause 0x1
	s_load_b128 s[4:7], s[0:1], 0x18
	s_load_b128 s[8:11], s[0:1], 0x0
	v_mul_lo_u16 v1, v1, 56
	s_delay_alu instid0(VALU_DEP_1) | instskip(NEXT) | instid1(VALU_DEP_1)
	v_sub_nc_u16 v128, v0, v1
	v_and_b32_e32 v211, 0xffff, v128
	s_wait_kmcnt 0x0
	s_load_b128 s[12:15], s[4:5], 0x0
	s_movk_i32 s4, 0xee80
	s_mov_b32 s5, -1
	s_wait_kmcnt 0x0
	v_mad_co_u64_u32 v[0:1], null, s14, v176, 0
	v_mad_co_u64_u32 v[2:3], null, s12, v211, 0
	s_mul_u64 s[2:3], s[12:13], 0x1500
	s_mul_u64 s[4:5], s[12:13], s[4:5]
	s_delay_alu instid0(VALU_DEP_1) | instskip(NEXT) | instid1(VALU_DEP_1)
	v_mad_co_u64_u32 v[4:5], null, s15, v176, v[1:2]
	v_mad_co_u64_u32 v[5:6], null, s13, v211, v[3:4]
	v_mov_b32_e32 v1, v4
	v_or_b32_e32 v4, 0x1c0, v211
	s_delay_alu instid0(VALU_DEP_2) | instskip(NEXT) | instid1(VALU_DEP_2)
	v_lshlrev_b64_e32 v[0:1], 4, v[0:1]
	v_mad_co_u64_u32 v[32:33], null, s12, v4, 0
	scratch_store_b32 off, v4, off          ; 4-byte Folded Spill
	v_add_co_u32 v50, vcc_lo, s18, v0
	v_add_co_ci_u32_e32 v51, vcc_lo, s19, v1, vcc_lo
	v_dual_mov_b32 v0, v33 :: v_dual_mov_b32 v3, v5
	v_lshlrev_b32_e32 v213, 4, v211
	s_clause 0x3
	global_load_b128 v[24:27], v213, s[8:9]
	global_load_b128 v[16:19], v213, s[8:9] offset:896
	global_load_b128 v[28:31], v213, s[8:9] offset:5376
	;; [unrolled: 1-line block ×3, first 2 shown]
	v_lshlrev_b64_e32 v[2:3], 4, v[2:3]
	v_mad_co_u64_u32 v[0:1], null, s13, v4, v[0:1]
	v_add_co_u32 v183, null, v211, 56
	v_lshlrev_b32_e32 v214, 5, v211
	s_delay_alu instid0(VALU_DEP_4) | instskip(SKIP_3) | instid1(VALU_DEP_3)
	v_add_co_u32 v40, vcc_lo, v50, v2
	s_wait_alu 0xfffd
	v_add_co_ci_u32_e32 v41, vcc_lo, v51, v3, vcc_lo
	v_mov_b32_e32 v33, v0
	v_add_co_u32 v42, vcc_lo, v40, s2
	s_wait_alu 0xfffd
	s_delay_alu instid0(VALU_DEP_3) | instskip(NEXT) | instid1(VALU_DEP_3)
	v_add_co_ci_u32_e32 v43, vcc_lo, s3, v41, vcc_lo
	v_lshlrev_b64_e32 v[48:49], 4, v[32:33]
	s_delay_alu instid0(VALU_DEP_3) | instskip(SKIP_1) | instid1(VALU_DEP_3)
	v_add_co_u32 v44, vcc_lo, v42, s4
	s_wait_alu 0xfffd
	v_add_co_ci_u32_e32 v45, vcc_lo, s5, v43, vcc_lo
	s_clause 0x1
	global_load_b128 v[4:7], v213, s[8:9] offset:1792
	global_load_b128 v[0:3], v213, s[8:9] offset:2688
	v_add_co_u32 v46, vcc_lo, v44, s2
	s_wait_alu 0xfffd
	v_add_co_ci_u32_e32 v47, vcc_lo, s3, v45, vcc_lo
	s_clause 0x1
	global_load_b128 v[8:11], v213, s[8:9] offset:7168
	global_load_b128 v[12:15], v213, s[8:9] offset:8064
	v_add_co_u32 v64, vcc_lo, v46, s4
	s_wait_alu 0xfffd
	v_add_co_ci_u32_e32 v65, vcc_lo, s5, v47, vcc_lo
	v_add_co_u32 v68, vcc_lo, v50, v48
	s_wait_alu 0xfffd
	v_add_co_ci_u32_e32 v69, vcc_lo, v51, v49, vcc_lo
	s_delay_alu instid0(VALU_DEP_3) | instskip(SKIP_4) | instid1(VALU_DEP_1)
	v_mad_co_u64_u32 v[72:73], null, 0x380, s12, v[64:65]
	global_load_b128 v[32:35], v213, s[8:9] offset:3584
	v_and_b32_e32 v175, 31, v211
	v_and_b32_e32 v198, 31, v183
	v_mov_b32_e32 v36, v73
	v_mad_co_u64_u32 v[56:57], null, 0x380, s13, v[36:37]
	global_load_b128 v[36:39], v213, s[8:9] offset:8960
	s_clause 0x1
	global_load_b128 v[48:51], v[40:41], off
	global_load_b128 v[52:55], v[42:43], off
	v_add_co_u32 v40, vcc_lo, v72, s2
	s_mov_b32 s13, 0xbfebb67a
	v_mov_b32_e32 v73, v56
	s_clause 0x3
	global_load_b128 v[56:59], v[44:45], off
	global_load_b128 v[60:63], v[46:47], off
	;; [unrolled: 1-line block ×4, first 2 shown]
	s_wait_alu 0xfffd
	v_add_co_ci_u32_e32 v41, vcc_lo, s3, v73, vcc_lo
	v_add_co_u32 v42, vcc_lo, v40, s4
	global_load_b128 v[72:75], v[72:73], off
	s_wait_alu 0xfffd
	v_add_co_ci_u32_e32 v43, vcc_lo, s5, v41, vcc_lo
	v_add_co_u32 v44, vcc_lo, v42, s2
	global_load_b128 v[76:79], v[40:41], off
	;; [unrolled: 4-line block ×3, first 2 shown]
	s_wait_alu 0xfffd
	v_add_co_ci_u32_e32 v47, vcc_lo, s5, v45, vcc_lo
	v_add_co_u32 v92, vcc_lo, v46, s2
	s_wait_alu 0xfffd
	s_delay_alu instid0(VALU_DEP_2)
	v_add_co_ci_u32_e32 v93, vcc_lo, s3, v47, vcc_lo
	global_load_b128 v[84:87], v[44:45], off
	global_load_b128 v[40:43], v213, s[8:9] offset:4480
	global_load_b128 v[88:91], v[46:47], off
	global_load_b128 v[44:47], v213, s[8:9] offset:9856
	global_load_b128 v[92:95], v[92:93], off
	s_load_b128 s[4:7], s[6:7], 0x0
	s_mov_b32 s2, 0xe8584caa
	s_mov_b32 s3, 0x3febb67a
	s_wait_alu 0xfffe
	s_mov_b32 s12, s2
	v_cmp_gt_u16_e64 vcc_lo, 40, v128
	s_wait_loadcnt 0xd
	v_mul_f64_e32 v[96:97], v[50:51], v[26:27]
	v_mul_f64_e32 v[98:99], v[48:49], v[26:27]
	s_wait_loadcnt 0xc
	v_mul_f64_e32 v[100:101], v[54:55], v[30:31]
	v_mul_f64_e32 v[102:103], v[52:53], v[30:31]
	;; [unrolled: 3-line block ×12, first 2 shown]
	v_fma_f64 v[48:49], v[48:49], v[24:25], v[96:97]
	v_fma_f64 v[50:51], v[50:51], v[24:25], -v[98:99]
	v_fma_f64 v[52:53], v[52:53], v[28:29], v[100:101]
	v_fma_f64 v[54:55], v[54:55], v[28:29], -v[102:103]
	;; [unrolled: 2-line block ×6, first 2 shown]
	v_lshlrev_b32_e32 v108, 5, v183
	v_fma_f64 v[72:73], v[72:73], v[0:1], v[120:121]
	v_fma_f64 v[74:75], v[74:75], v[0:1], -v[122:123]
	v_fma_f64 v[76:77], v[76:77], v[12:13], v[124:125]
	v_fma_f64 v[78:79], v[78:79], v[12:13], -v[126:127]
	;; [unrolled: 2-line block ×6, first 2 shown]
	v_and_b32_e32 v137, 3, v211
	ds_store_b128 v213, v[48:51]
	ds_store_b128 v213, v[56:59] offset:896
	ds_store_b128 v213, v[52:55] offset:5376
	;; [unrolled: 1-line block ×11, first 2 shown]
	global_wb scope:SCOPE_SE
	s_wait_storecnt_dscnt 0x0
	s_wait_kmcnt 0x0
	s_barrier_signal -1
	s_barrier_wait -1
	global_inv scope:SCOPE_SE
	ds_load_b128 v[48:51], v213 offset:5376
	ds_load_b128 v[52:55], v213
	ds_load_b128 v[56:59], v213 offset:896
	ds_load_b128 v[60:63], v213 offset:6272
	;; [unrolled: 1-line block ×10, first 2 shown]
	global_wb scope:SCOPE_SE
	s_wait_dscnt 0x0
	s_barrier_signal -1
	s_barrier_wait -1
	global_inv scope:SCOPE_SE
	v_add_f64_e64 v[48:49], v[52:53], -v[48:49]
	v_add_f64_e64 v[50:51], v[54:55], -v[50:51]
	;; [unrolled: 1-line block ×3, first 2 shown]
	v_add_nc_u32_e32 v60, 0x118, v211
	v_add_f64_e64 v[98:99], v[58:59], -v[62:63]
	v_add_f64_e64 v[61:62], v[68:69], -v[64:65]
	;; [unrolled: 1-line block ×9, first 2 shown]
	v_and_b32_e32 v67, 1, v211
	v_lshlrev_b32_e32 v104, 5, v60
	s_delay_alu instid0(VALU_DEP_2)
	v_lshlrev_b32_e32 v66, 4, v67
	v_fma_f64 v[52:53], v[52:53], 2.0, -v[48:49]
	v_fma_f64 v[54:55], v[54:55], 2.0, -v[50:51]
	;; [unrolled: 1-line block ×12, first 2 shown]
	v_lshlrev_b32_e32 v70, 1, v211
	v_add_nc_u32_e32 v69, 0x70, v211
	v_add_nc_u32_e32 v68, 0xa8, v211
	ds_store_b128 v214, v[52:55]
	ds_store_b128 v214, v[48:51] offset:16
	ds_store_b128 v108, v[56:59]
	v_add_nc_u32_e32 v71, 0x1c0, v70
	v_lshlrev_b32_e32 v107, 5, v69
	v_lshlrev_b32_e32 v106, 5, v68
	;; [unrolled: 1-line block ×3, first 2 shown]
	scratch_store_b32 off, v108, off offset:48 ; 4-byte Folded Spill
	v_lshlrev_b32_e32 v105, 4, v71
	scratch_store_b32 off, v107, off offset:36 ; 4-byte Folded Spill
	ds_store_b128 v108, v[96:99] offset:16
	ds_store_b128 v107, v[61:64] offset:16
	;; [unrolled: 1-line block ×4, first 2 shown]
	scratch_store_b32 off, v106, off offset:28 ; 4-byte Folded Spill
	ds_store_b128 v106, v[76:79] offset:16
	ds_store_b128 v65, v[84:87] offset:7168
	scratch_store_b32 off, v105, off offset:16 ; 4-byte Folded Spill
	ds_store_b128 v105, v[80:83] offset:16
	ds_store_b128 v214, v[88:91] offset:8960
	scratch_store_b32 off, v104, off offset:4 ; 4-byte Folded Spill
	ds_store_b128 v104, v[92:95] offset:16
	global_wb scope:SCOPE_SE
	s_wait_storecnt_dscnt 0x0
	s_barrier_signal -1
	s_barrier_wait -1
	global_inv scope:SCOPE_SE
	global_load_b128 v[48:51], v66, s[10:11]
	ds_load_b128 v[52:55], v213 offset:5376
	ds_load_b128 v[56:59], v213 offset:6272
	;; [unrolled: 1-line block ×6, first 2 shown]
	v_and_b32_e32 v199, 31, v69
	v_and_b32_e32 v200, 31, v68
	s_wait_loadcnt_dscnt 0x5
	v_mul_f64_e32 v[65:66], v[54:55], v[50:51]
	v_mul_f64_e32 v[84:85], v[52:53], v[50:51]
	s_wait_dscnt 0x4
	v_mul_f64_e32 v[86:87], v[58:59], v[50:51]
	v_mul_f64_e32 v[88:89], v[56:57], v[50:51]
	s_wait_dscnt 0x3
	;; [unrolled: 3-line block ×5, first 2 shown]
	v_mul_f64_e32 v[102:103], v[82:83], v[50:51]
	v_mul_f64_e32 v[104:105], v[80:81], v[50:51]
	v_fma_f64 v[65:66], v[52:53], v[48:49], -v[65:66]
	v_fma_f64 v[106:107], v[54:55], v[48:49], v[84:85]
	v_fma_f64 v[108:109], v[56:57], v[48:49], -v[86:87]
	v_fma_f64 v[110:111], v[58:59], v[48:49], v[88:89]
	;; [unrolled: 2-line block ×6, first 2 shown]
	ds_load_b128 v[52:55], v213
	ds_load_b128 v[56:59], v213 offset:896
	ds_load_b128 v[61:64], v213 offset:1792
	;; [unrolled: 1-line block ×5, first 2 shown]
	global_wb scope:SCOPE_SE
	s_wait_dscnt 0x0
	s_barrier_signal -1
	s_barrier_wait -1
	global_inv scope:SCOPE_SE
	v_add_f64_e64 v[84:85], v[52:53], -v[65:66]
	v_add_f64_e64 v[86:87], v[54:55], -v[106:107]
	;; [unrolled: 1-line block ×12, first 2 shown]
	v_and_or_b32 v65, 0x7c, v70, v67
	v_and_or_b32 v114, 0x3fc, v71, v67
	v_lshlrev_b32_e32 v66, 4, v137
	s_delay_alu instid0(VALU_DEP_3)
	v_lshlrev_b32_e32 v117, 4, v65
	scratch_store_b32 off, v117, off offset:72 ; 4-byte Folded Spill
	v_fma_f64 v[52:53], v[52:53], 2.0, -v[84:85]
	v_fma_f64 v[54:55], v[54:55], 2.0, -v[86:87]
	;; [unrolled: 1-line block ×12, first 2 shown]
	v_lshlrev_b32_e32 v72, 1, v183
	v_lshlrev_b32_e32 v74, 1, v69
	;; [unrolled: 1-line block ×4, first 2 shown]
	v_lshrrev_b32_e32 v69, 5, v69
	v_and_or_b32 v65, 0xfc, v72, v67
	v_and_or_b32 v112, 0x1fc, v74, v67
	;; [unrolled: 1-line block ×4, first 2 shown]
	v_mul_u32_u24_e32 v69, 0x60, v69
	v_lshlrev_b32_e32 v116, 4, v65
	v_lshlrev_b32_e32 v115, 4, v112
	;; [unrolled: 1-line block ×5, first 2 shown]
	v_and_b32_e32 v67, 7, v211
	v_or_b32_e32 v69, v69, v199
	s_delay_alu instid0(VALU_DEP_1)
	v_lshlrev_b32_e32 v216, 4, v69
	ds_store_b128 v117, v[52:55]
	ds_store_b128 v117, v[84:87] offset:32
	ds_store_b128 v116, v[56:59]
	scratch_store_b32 off, v116, off offset:60 ; 4-byte Folded Spill
	ds_store_b128 v116, v[88:91] offset:32
	ds_store_b128 v115, v[61:64]
	scratch_store_b32 off, v115, off offset:44 ; 4-byte Folded Spill
	;; [unrolled: 3-line block ×5, first 2 shown]
	ds_store_b128 v65, v[104:107] offset:32
	global_wb scope:SCOPE_SE
	s_wait_storecnt_dscnt 0x0
	s_barrier_signal -1
	s_barrier_wait -1
	global_inv scope:SCOPE_SE
	global_load_b128 v[52:55], v66, s[10:11] offset:32
	ds_load_b128 v[56:59], v213 offset:5376
	ds_load_b128 v[61:64], v213 offset:6272
	;; [unrolled: 1-line block ×6, first 2 shown]
	s_wait_loadcnt_dscnt 0x5
	v_mul_f64_e32 v[65:66], v[58:59], v[54:55]
	v_mul_f64_e32 v[92:93], v[56:57], v[54:55]
	s_wait_dscnt 0x4
	v_mul_f64_e32 v[94:95], v[63:64], v[54:55]
	v_mul_f64_e32 v[96:97], v[61:62], v[54:55]
	s_wait_dscnt 0x3
	;; [unrolled: 3-line block ×5, first 2 shown]
	v_mul_f64_e32 v[110:111], v[90:91], v[54:55]
	v_mul_f64_e32 v[112:113], v[88:89], v[54:55]
	v_fma_f64 v[65:66], v[56:57], v[52:53], -v[65:66]
	v_fma_f64 v[114:115], v[58:59], v[52:53], v[92:93]
	v_fma_f64 v[116:117], v[61:62], v[52:53], -v[94:95]
	v_fma_f64 v[118:119], v[63:64], v[52:53], v[96:97]
	;; [unrolled: 2-line block ×6, first 2 shown]
	ds_load_b128 v[56:59], v213
	ds_load_b128 v[61:64], v213 offset:896
	ds_load_b128 v[76:79], v213 offset:1792
	;; [unrolled: 1-line block ×5, first 2 shown]
	global_wb scope:SCOPE_SE
	s_wait_dscnt 0x0
	s_barrier_signal -1
	s_barrier_wait -1
	global_inv scope:SCOPE_SE
	v_add_f64_e64 v[92:93], v[56:57], -v[65:66]
	v_add_f64_e64 v[94:95], v[58:59], -v[114:115]
	;; [unrolled: 1-line block ×12, first 2 shown]
	v_and_or_b32 v65, 0x78, v70, v137
	v_and_or_b32 v116, 0x1f8, v74, v137
	;; [unrolled: 1-line block ×5, first 2 shown]
	v_lshlrev_b32_e32 v122, 4, v65
	v_and_or_b32 v65, 0xf8, v72, v137
	v_lshlrev_b32_e32 v66, 4, v67
	v_lshlrev_b32_e32 v120, 4, v116
	;; [unrolled: 1-line block ×6, first 2 shown]
	scratch_store_b32 off, v122, off offset:76 ; 4-byte Folded Spill
	v_fma_f64 v[56:57], v[56:57], 2.0, -v[92:93]
	v_fma_f64 v[58:59], v[58:59], 2.0, -v[94:95]
	;; [unrolled: 1-line block ×12, first 2 shown]
	ds_store_b128 v122, v[56:59]
	ds_store_b128 v122, v[92:95] offset:64
	ds_store_b128 v121, v[61:64]
	scratch_store_b32 off, v121, off offset:64 ; 4-byte Folded Spill
	ds_store_b128 v121, v[96:99] offset:64
	ds_store_b128 v120, v[76:79]
	scratch_store_b32 off, v120, off offset:52 ; 4-byte Folded Spill
	;; [unrolled: 3-line block ×5, first 2 shown]
	ds_store_b128 v65, v[112:115] offset:64
	global_wb scope:SCOPE_SE
	s_wait_storecnt_dscnt 0x0
	s_barrier_signal -1
	s_barrier_wait -1
	global_inv scope:SCOPE_SE
	global_load_b128 v[56:59], v66, s[10:11] offset:96
	ds_load_b128 v[61:64], v213 offset:5376
	ds_load_b128 v[76:79], v213 offset:6272
	;; [unrolled: 1-line block ×6, first 2 shown]
	s_wait_loadcnt_dscnt 0x5
	v_mul_f64_e32 v[65:66], v[63:64], v[58:59]
	v_mul_f64_e32 v[96:97], v[61:62], v[58:59]
	s_wait_dscnt 0x4
	v_mul_f64_e32 v[98:99], v[78:79], v[58:59]
	v_mul_f64_e32 v[100:101], v[76:77], v[58:59]
	s_wait_dscnt 0x3
	;; [unrolled: 3-line block ×5, first 2 shown]
	v_mul_f64_e32 v[114:115], v[94:95], v[58:59]
	v_mul_f64_e32 v[116:117], v[92:93], v[58:59]
	v_fma_f64 v[65:66], v[61:62], v[56:57], -v[65:66]
	v_fma_f64 v[118:119], v[63:64], v[56:57], v[96:97]
	v_fma_f64 v[120:121], v[76:77], v[56:57], -v[98:99]
	v_fma_f64 v[122:123], v[78:79], v[56:57], v[100:101]
	;; [unrolled: 2-line block ×6, first 2 shown]
	ds_load_b128 v[61:64], v213
	ds_load_b128 v[76:79], v213 offset:896
	ds_load_b128 v[80:83], v213 offset:1792
	;; [unrolled: 1-line block ×5, first 2 shown]
	global_wb scope:SCOPE_SE
	s_wait_dscnt 0x0
	s_barrier_signal -1
	s_barrier_wait -1
	global_inv scope:SCOPE_SE
	v_add_f64_e64 v[96:97], v[61:62], -v[65:66]
	v_add_f64_e64 v[98:99], v[63:64], -v[118:119]
	;; [unrolled: 1-line block ×12, first 2 shown]
	v_and_or_b32 v65, 0x70, v70, v67
	v_and_b32_e32 v130, 15, v60
	v_and_or_b32 v60, 0xf0, v72, v67
	v_and_b32_e32 v129, 15, v211
	v_and_or_b32 v120, 0x1f0, v75, v67
	v_lshlrev_b32_e32 v125, 4, v65
	v_and_or_b32 v65, 0x1f0, v74, v67
	v_and_or_b32 v121, 0x3f0, v71, v67
	;; [unrolled: 1-line block ×3, first 2 shown]
	v_and_b32_e32 v131, 15, v68
	v_lshlrev_b32_e32 v124, 4, v60
	v_lshlrev_b32_e32 v66, 4, v129
	v_lshlrev_b32_e32 v123, 4, v65
	v_lshlrev_b32_e32 v120, 4, v120
	v_lshlrev_b32_e32 v65, 4, v121
	v_lshlrev_b32_e32 v60, 4, v67
	v_lshlrev_b32_e32 v122, 4, v130
	scratch_store_b32 off, v125, off offset:100 ; 4-byte Folded Spill
	v_and_b32_e32 v132, 15, v183
	v_and_or_b32 v70, 0x60, v70, v129
	v_and_or_b32 v71, 0x3e0, v71, v129
	;; [unrolled: 1-line block ×3, first 2 shown]
	v_lshlrev_b32_e32 v133, 5, v175
	v_lshrrev_b32_e32 v68, 5, v68
	v_lshlrev_b32_e32 v247, 4, v70
	v_and_or_b32 v70, 0xe0, v72, v132
	v_fma_f64 v[61:62], v[61:62], 2.0, -v[96:97]
	v_fma_f64 v[63:64], v[63:64], 2.0, -v[98:99]
	;; [unrolled: 1-line block ×12, first 2 shown]
	v_and_or_b32 v72, 0x1e0, v74, v129
	v_and_or_b32 v74, 0x1e0, v75, v131
	v_lshlrev_b32_e32 v246, 4, v70
	v_lshlrev_b32_e32 v71, 4, v71
	;; [unrolled: 1-line block ×6, first 2 shown]
	v_mul_u32_u24_e32 v68, 0x60, v68
	s_delay_alu instid0(VALU_DEP_1) | instskip(NEXT) | instid1(VALU_DEP_1)
	v_or_b32_e32 v68, v68, v200
	v_lshlrev_b32_e32 v215, 4, v68
	ds_store_b128 v125, v[61:64]
	ds_store_b128 v125, v[96:99] offset:128
	ds_store_b128 v124, v[76:79]
	v_lshlrev_b32_e32 v76, 4, v131
	scratch_store_b32 off, v124, off offset:92 ; 4-byte Folded Spill
	ds_store_b128 v124, v[100:103] offset:128
	ds_store_b128 v123, v[80:83]
	scratch_store_b32 off, v123, off offset:84 ; 4-byte Folded Spill
	ds_store_b128 v123, v[104:107] offset:128
	ds_store_b128 v120, v[84:87]
	;; [unrolled: 3-line block ×4, first 2 shown]
	scratch_store_b32 off, v60, off offset:56 ; 4-byte Folded Spill
	ds_store_b128 v60, v[116:119] offset:128
	global_wb scope:SCOPE_SE
	s_wait_storecnt_dscnt 0x0
	s_barrier_signal -1
	s_barrier_wait -1
	global_inv scope:SCOPE_SE
	s_clause 0x3
	global_load_b128 v[64:67], v66, s[10:11] offset:224
	global_load_b128 v[60:63], v122, s[10:11] offset:224
	;; [unrolled: 1-line block ×3, first 2 shown]
	global_load_b64 v[179:180], v122, s[10:11] offset:232
	v_lshlrev_b32_e32 v80, 4, v132
	global_load_b64 v[177:178], v80, s[10:11] offset:224
	ds_load_b128 v[80:83], v213 offset:5376
	ds_load_b128 v[84:87], v213 offset:6272
	;; [unrolled: 1-line block ×6, first 2 shown]
	s_wait_loadcnt_dscnt 0x304
	v_mul_f64_e32 v[108:109], v[86:87], v[62:63]
	v_mul_f64_e32 v[104:105], v[82:83], v[66:67]
	;; [unrolled: 1-line block ×3, first 2 shown]
	s_wait_loadcnt_dscnt 0x100
	v_mul_f64_e32 v[124:125], v[102:103], v[179:180]
	v_mul_f64_e32 v[126:127], v[100:101], v[179:180]
	;; [unrolled: 1-line block ×9, first 2 shown]
	s_wait_loadcnt 0x0
	v_fma_f64 v[108:109], v[84:85], v[177:178], -v[108:109]
	v_fma_f64 v[104:105], v[80:81], v[64:65], -v[104:105]
	v_fma_f64 v[106:107], v[82:83], v[64:65], v[106:107]
	v_fma_f64 v[124:125], v[100:101], v[60:61], -v[124:125]
	v_fma_f64 v[126:127], v[102:103], v[60:61], v[126:127]
	v_fma_f64 v[110:111], v[86:87], v[177:178], v[110:111]
	v_fma_f64 v[112:113], v[88:89], v[64:65], -v[112:113]
	v_fma_f64 v[114:115], v[90:91], v[64:65], v[114:115]
	v_fma_f64 v[116:117], v[92:93], v[76:77], -v[116:117]
	;; [unrolled: 2-line block ×3, first 2 shown]
	v_fma_f64 v[122:123], v[98:99], v[64:65], v[122:123]
	ds_load_b128 v[80:83], v213
	ds_load_b128 v[84:87], v213 offset:896
	ds_load_b128 v[88:91], v213 offset:1792
	;; [unrolled: 1-line block ×5, first 2 shown]
	global_wb scope:SCOPE_SE
	s_wait_dscnt 0x0
	s_barrier_signal -1
	s_barrier_wait -1
	global_inv scope:SCOPE_SE
	v_add_f64_e64 v[108:109], v[84:85], -v[108:109]
	v_add_f64_e64 v[104:105], v[80:81], -v[104:105]
	v_add_f64_e64 v[106:107], v[82:83], -v[106:107]
	v_add_f64_e64 v[124:125], v[100:101], -v[124:125]
	v_add_f64_e64 v[126:127], v[102:103], -v[126:127]
	v_add_f64_e64 v[110:111], v[86:87], -v[110:111]
	v_add_f64_e64 v[112:113], v[88:89], -v[112:113]
	v_add_f64_e64 v[114:115], v[90:91], -v[114:115]
	v_add_f64_e64 v[116:117], v[92:93], -v[116:117]
	v_add_f64_e64 v[118:119], v[94:95], -v[118:119]
	v_add_f64_e64 v[120:121], v[96:97], -v[120:121]
	v_add_f64_e64 v[122:123], v[98:99], -v[122:123]
	v_fma_f64 v[84:85], v[84:85], 2.0, -v[108:109]
	v_fma_f64 v[80:81], v[80:81], 2.0, -v[104:105]
	;; [unrolled: 1-line block ×12, first 2 shown]
	ds_store_b128 v247, v[80:83]
	ds_store_b128 v247, v[104:107] offset:256
	ds_store_b128 v246, v[84:87]
	ds_store_b128 v246, v[108:111] offset:256
	;; [unrolled: 2-line block ×4, first 2 shown]
	ds_store_b128 v71, v[96:99]
	scratch_store_b32 off, v71, off offset:96 ; 4-byte Folded Spill
	ds_store_b128 v71, v[120:123] offset:256
	ds_store_b128 v70, v[100:103]
	scratch_store_b32 off, v70, off offset:88 ; 4-byte Folded Spill
	ds_store_b128 v70, v[124:127] offset:256
	global_wb scope:SCOPE_SE
	s_wait_storecnt_dscnt 0x0
	s_barrier_signal -1
	s_barrier_wait -1
	global_inv scope:SCOPE_SE
	s_clause 0x1
	global_load_b128 v[112:115], v133, s[10:11] offset:480
	global_load_b128 v[96:99], v133, s[10:11] offset:496
	v_lshlrev_b32_e32 v70, 5, v199
	s_clause 0x1
	global_load_b128 v[124:127], v75, s[10:11] offset:480
	global_load_b128 v[120:123], v75, s[10:11] offset:496
	v_lshlrev_b32_e32 v71, 5, v200
	s_clause 0x3
	global_load_b128 v[116:119], v70, s[10:11] offset:480
	global_load_b128 v[104:107], v70, s[10:11] offset:496
	;; [unrolled: 1-line block ×4, first 2 shown]
	ds_load_b128 v[70:73], v213 offset:3584
	ds_load_b128 v[80:83], v213 offset:7168
	ds_load_b128 v[84:87], v213 offset:4480
	ds_load_b128 v[88:91], v213 offset:8064
	ds_load_b128 v[92:95], v213 offset:5376
	ds_load_b128 v[129:132], v213 offset:8960
	ds_load_b128 v[133:136], v213 offset:6272
	ds_load_b128 v[137:140], v213 offset:9856
	s_wait_loadcnt_dscnt 0x707
	v_mul_f64_e32 v[74:75], v[72:73], v[114:115]
	v_mul_f64_e32 v[141:142], v[70:71], v[114:115]
	s_wait_loadcnt_dscnt 0x606
	v_mul_f64_e32 v[143:144], v[82:83], v[98:99]
	v_mul_f64_e32 v[145:146], v[80:81], v[98:99]
	;; [unrolled: 3-line block ×8, first 2 shown]
	v_fma_f64 v[74:75], v[70:71], v[112:113], -v[74:75]
	v_fma_f64 v[141:142], v[72:73], v[112:113], v[141:142]
	v_fma_f64 v[143:144], v[80:81], v[96:97], -v[143:144]
	v_fma_f64 v[145:146], v[82:83], v[96:97], v[145:146]
	;; [unrolled: 2-line block ×8, first 2 shown]
	ds_load_b128 v[70:73], v213
	ds_load_b128 v[80:83], v213 offset:896
	ds_load_b128 v[84:87], v213 offset:1792
	;; [unrolled: 1-line block ×3, first 2 shown]
	global_wb scope:SCOPE_SE
	s_wait_dscnt 0x0
	s_barrier_signal -1
	s_barrier_wait -1
	global_inv scope:SCOPE_SE
	v_add_f64_e32 v[171:172], v[70:71], v[74:75]
	v_add_f64_e32 v[155:156], v[74:75], v[143:144]
	;; [unrolled: 1-line block ×3, first 2 shown]
	v_add_f64_e64 v[173:174], v[141:142], -v[145:146]
	v_add_f64_e32 v[141:142], v[72:73], v[141:142]
	v_add_f64_e32 v[159:160], v[147:148], v[151:152]
	;; [unrolled: 1-line block ×7, first 2 shown]
	v_add_f64_e64 v[74:75], v[74:75], -v[143:144]
	v_add_f64_e32 v[181:182], v[80:81], v[147:148]
	v_add_f64_e32 v[167:168], v[133:134], v[137:138]
	;; [unrolled: 1-line block ×6, first 2 shown]
	v_add_f64_e64 v[149:150], v[149:150], -v[153:154]
	v_add_f64_e64 v[147:148], v[147:148], -v[151:152]
	;; [unrolled: 1-line block ×4, first 2 shown]
	v_fma_f64 v[155:156], v[155:156], -0.5, v[70:71]
	v_fma_f64 v[157:158], v[157:158], -0.5, v[72:73]
	v_add_f64_e32 v[70:71], v[171:172], v[143:144]
	v_add_f64_e32 v[72:73], v[141:142], v[145:146]
	v_fma_f64 v[159:160], v[159:160], -0.5, v[80:81]
	v_fma_f64 v[161:162], v[161:162], -0.5, v[82:83]
	v_add_f64_e32 v[94:95], v[188:189], v[131:132]
	v_fma_f64 v[84:85], v[163:164], -0.5, v[84:85]
	v_add_f64_e64 v[163:164], v[92:93], -v[129:130]
	v_fma_f64 v[86:87], v[165:166], -0.5, v[86:87]
	v_add_f64_e64 v[165:166], v[135:136], -v[139:140]
	v_fma_f64 v[167:168], v[167:168], -0.5, v[88:89]
	v_fma_f64 v[169:170], v[169:170], -0.5, v[90:91]
	v_add_f64_e32 v[92:93], v[186:187], v[129:130]
	v_add_f64_e32 v[88:89], v[181:182], v[151:152]
	;; [unrolled: 1-line block ×5, first 2 shown]
	v_fma_f64 v[129:130], v[173:174], s[2:3], v[155:156]
	s_wait_alu 0xfffe
	v_fma_f64 v[131:132], v[74:75], s[12:13], v[157:158]
	v_fma_f64 v[133:134], v[173:174], s[12:13], v[155:156]
	;; [unrolled: 1-line block ×15, first 2 shown]
	v_lshrrev_b32_e32 v74, 5, v211
	v_lshrrev_b32_e32 v75, 5, v183
	s_load_b64 s[2:3], s[0:1], 0x38
	v_add_co_u32 v181, s0, s8, v213
	s_delay_alu instid0(VALU_DEP_3) | instskip(NEXT) | instid1(VALU_DEP_3)
	v_mul_u32_u24_e32 v74, 0x60, v74
	v_mul_u32_u24_e32 v75, 0x60, v75
	s_wait_alu 0xf1ff
	v_add_co_ci_u32_e64 v182, null, s9, 0, s0
                                        ; implicit-def: $vgpr168_vgpr169
                                        ; implicit-def: $vgpr172_vgpr173
	s_delay_alu instid0(VALU_DEP_3) | instskip(NEXT) | instid1(VALU_DEP_3)
	v_or_b32_e32 v74, v74, v175
	v_or_b32_e32 v75, v75, v198
	s_delay_alu instid0(VALU_DEP_2) | instskip(NEXT) | instid1(VALU_DEP_2)
	v_lshlrev_b32_e32 v225, 4, v74
	v_lshlrev_b32_e32 v217, 4, v75
	ds_store_b128 v225, v[70:73]
	ds_store_b128 v225, v[129:132] offset:512
	ds_store_b128 v225, v[133:136] offset:1024
	ds_store_b128 v217, v[88:91]
	ds_store_b128 v217, v[137:140] offset:512
	ds_store_b128 v217, v[141:144] offset:1024
	;; [unrolled: 3-line block ×4, first 2 shown]
	global_wb scope:SCOPE_SE
	s_wait_dscnt 0x0
	s_wait_kmcnt 0x0
	s_barrier_signal -1
	s_barrier_wait -1
	global_inv scope:SCOPE_SE
	ds_load_b128 v[156:159], v213
	ds_load_b128 v[140:143], v213 offset:1536
	ds_load_b128 v[136:139], v213 offset:3072
	;; [unrolled: 1-line block ×6, first 2 shown]
	s_and_saveexec_b32 s0, vcc_lo
	s_cbranch_execz .LBB0_3
; %bb.2:
	ds_load_b128 v[152:155], v213 offset:896
	ds_load_b128 v[84:87], v213 offset:2432
	;; [unrolled: 1-line block ×7, first 2 shown]
.LBB0_3:
	s_wait_alu 0xfffe
	s_or_b32 exec_lo, exec_lo, s0
	v_mad_co_u64_u32 v[148:149], null, 0x60, v211, s[10:11]
	s_mov_b32 s12, 0xe976ee23
	s_mov_b32 s14, 0x429ad128
	;; [unrolled: 1-line block ×6, first 2 shown]
	s_clause 0x1
	global_load_b128 v[128:131], v[148:149], off offset:1504
	global_load_b128 v[132:135], v[148:149], off offset:1520
	s_mov_b32 s16, 0xaaaaaaaa
	s_mov_b32 s24, 0xb247c609
	;; [unrolled: 1-line block ×9, first 2 shown]
	s_wait_loadcnt_dscnt 0x105
	v_mul_f64_e32 v[144:145], v[142:143], v[130:131]
	s_delay_alu instid0(VALU_DEP_1) | instskip(SKIP_1) | instid1(VALU_DEP_1)
	v_fma_f64 v[184:185], v[140:141], v[128:129], -v[144:145]
	v_mul_f64_e32 v[140:141], v[140:141], v[130:131]
	v_fma_f64 v[186:187], v[142:143], v[128:129], v[140:141]
	s_wait_loadcnt_dscnt 0x4
	v_mul_f64_e32 v[140:141], v[138:139], v[134:135]
	s_delay_alu instid0(VALU_DEP_1) | instskip(SKIP_1) | instid1(VALU_DEP_1)
	v_fma_f64 v[188:189], v[136:137], v[132:133], -v[140:141]
	v_mul_f64_e32 v[136:137], v[136:137], v[134:135]
	v_fma_f64 v[190:191], v[138:139], v[132:133], v[136:137]
	s_clause 0x1
	global_load_b128 v[136:139], v[148:149], off offset:1584
	global_load_b128 v[140:143], v[148:149], off offset:1568
	s_wait_loadcnt_dscnt 0x100
	v_mul_f64_e32 v[144:145], v[94:95], v[138:139]
	s_delay_alu instid0(VALU_DEP_1) | instskip(SKIP_4) | instid1(VALU_DEP_1)
	v_fma_f64 v[192:193], v[92:93], v[136:137], -v[144:145]
	s_clause 0x1
	global_load_b128 v[144:147], v[148:149], off offset:1536
	global_load_b128 v[148:151], v[148:149], off offset:1552
	v_mul_f64_e32 v[92:93], v[92:93], v[138:139]
	v_fma_f64 v[194:195], v[94:95], v[136:137], v[92:93]
	s_wait_loadcnt 0x2
	v_mul_f64_e32 v[92:93], v[90:91], v[142:143]
	s_delay_alu instid0(VALU_DEP_1) | instskip(SKIP_1) | instid1(VALU_DEP_1)
	v_fma_f64 v[196:197], v[88:89], v[140:141], -v[92:93]
	v_mul_f64_e32 v[88:89], v[88:89], v[142:143]
	v_fma_f64 v[198:199], v[90:91], v[140:141], v[88:89]
	s_wait_loadcnt 0x1
	v_mul_f64_e32 v[88:89], v[74:75], v[146:147]
	s_delay_alu instid0(VALU_DEP_1) | instskip(SKIP_1) | instid1(VALU_DEP_1)
	v_fma_f64 v[200:201], v[72:73], v[144:145], -v[88:89]
	;; [unrolled: 6-line block ×3, first 2 shown]
	v_mul_f64_e32 v[68:69], v[68:69], v[150:151]
	v_fma_f64 v[206:207], v[70:71], v[148:149], v[68:69]
	v_subrev_nc_u32_e32 v68, 40, v211
	s_delay_alu instid0(VALU_DEP_1) | instskip(NEXT) | instid1(VALU_DEP_1)
	v_cndmask_b32_e32 v68, v68, v183, vcc_lo
	v_mul_i32_i24_e32 v69, 0x60, v68
	v_mul_hi_i32_i24_e32 v68, 0x60, v68
	s_delay_alu instid0(VALU_DEP_2) | instskip(SKIP_1) | instid1(VALU_DEP_2)
	v_add_co_u32 v92, s0, s10, v69
	s_wait_alu 0xf1ff
	v_add_co_ci_u32_e64 v93, s0, s11, v68, s0
	s_clause 0x1
	global_load_b128 v[68:71], v[92:93], off offset:1504
	global_load_b128 v[72:75], v[92:93], off offset:1520
	s_mov_b32 s0, 0x36b3c0b5
	s_mov_b32 s1, 0x3fac98ee
	;; [unrolled: 1-line block ×4, first 2 shown]
	s_wait_alu 0xfffe
	s_mov_b32 s20, s10
	v_add_f64_e32 v[234:235], v[202:203], v[206:207]
	s_wait_loadcnt 0x1
	v_mul_f64_e32 v[88:89], v[86:87], v[70:71]
	s_delay_alu instid0(VALU_DEP_1) | instskip(SKIP_1) | instid1(VALU_DEP_1)
	v_fma_f64 v[208:209], v[84:85], v[68:69], -v[88:89]
	v_mul_f64_e32 v[84:85], v[84:85], v[70:71]
	v_fma_f64 v[218:219], v[86:87], v[68:69], v[84:85]
	s_wait_loadcnt 0x0
	v_mul_f64_e32 v[84:85], v[82:83], v[74:75]
	s_delay_alu instid0(VALU_DEP_1) | instskip(SKIP_1) | instid1(VALU_DEP_1)
	v_fma_f64 v[220:221], v[80:81], v[72:73], -v[84:85]
	v_mul_f64_e32 v[80:81], v[80:81], v[74:75]
	v_fma_f64 v[226:227], v[82:83], v[72:73], v[80:81]
	s_clause 0x1
	global_load_b128 v[80:83], v[92:93], off offset:1584
	global_load_b128 v[84:87], v[92:93], off offset:1568
	s_wait_loadcnt 0x1
	v_mul_f64_e32 v[88:89], v[174:175], v[82:83]
	s_delay_alu instid0(VALU_DEP_1) | instskip(SKIP_2) | instid1(VALU_DEP_2)
	v_fma_f64 v[228:229], v[172:173], v[80:81], -v[88:89]
	v_mul_f64_e32 v[88:89], v[172:173], v[82:83]
	v_add_f64_e32 v[172:173], v[200:201], v[204:205]
	v_fma_f64 v[248:249], v[174:175], v[80:81], v[88:89]
	s_wait_loadcnt 0x0
	v_mul_f64_e32 v[88:89], v[170:171], v[86:87]
	v_add_f64_e32 v[174:175], v[186:187], v[194:195]
	s_delay_alu instid0(VALU_DEP_2) | instskip(SKIP_1) | instid1(VALU_DEP_1)
	v_fma_f64 v[250:251], v[168:169], v[84:85], -v[88:89]
	v_mul_f64_e32 v[88:89], v[168:169], v[86:87]
	v_fma_f64 v[252:253], v[170:171], v[84:85], v[88:89]
	s_clause 0x1
	global_load_b128 v[88:91], v[92:93], off offset:1536
	global_load_b128 v[92:95], v[92:93], off offset:1552
	v_add_f64_e64 v[170:171], v[188:189], -v[196:197]
	s_wait_loadcnt 0x1
	v_mul_f64_e32 v[168:169], v[162:163], v[90:91]
	s_delay_alu instid0(VALU_DEP_1) | instskip(SKIP_1) | instid1(VALU_DEP_1)
	v_fma_f64 v[254:255], v[160:161], v[88:89], -v[168:169]
	v_mul_f64_e32 v[160:161], v[160:161], v[90:91]
	v_fma_f64 v[222:223], v[162:163], v[88:89], v[160:161]
	s_wait_loadcnt 0x0
	v_mul_f64_e32 v[160:161], v[166:167], v[94:95]
	v_add_f64_e32 v[162:163], v[188:189], v[196:197]
	v_add_f64_e64 v[188:189], v[204:205], -v[200:201]
	s_delay_alu instid0(VALU_DEP_3) | instskip(SKIP_1) | instid1(VALU_DEP_1)
	v_fma_f64 v[230:231], v[164:165], v[92:93], -v[160:161]
	v_mul_f64_e32 v[160:161], v[164:165], v[94:95]
	v_fma_f64 v[232:233], v[166:167], v[92:93], v[160:161]
	v_add_f64_e32 v[160:161], v[184:185], v[192:193]
	v_add_f64_e32 v[166:167], v[190:191], v[198:199]
	v_add_f64_e64 v[183:184], v[184:185], -v[192:193]
	v_add_f64_e64 v[190:191], v[190:191], -v[198:199]
	;; [unrolled: 1-line block ×6, first 2 shown]
	v_add_f64_e32 v[164:165], v[162:163], v[160:161]
	v_add_f64_e32 v[168:169], v[166:167], v[174:175]
	v_add_f64_e64 v[196:197], v[170:171], -v[183:184]
	v_add_f64_e32 v[170:171], v[188:189], v[170:171]
	v_add_f64_e64 v[200:201], v[190:191], -v[185:186]
	v_add_f64_e64 v[162:163], v[162:163], -v[160:161]
	v_add_f64_e64 v[160:161], v[160:161], -v[172:173]
	v_add_f64_e64 v[198:199], v[192:193], -v[190:191]
	v_add_f64_e32 v[190:191], v[192:193], v[190:191]
	v_add_f64_e64 v[204:205], v[234:235], -v[166:167]
	v_add_f64_e64 v[206:207], v[166:167], -v[174:175]
	v_mul_f64_e32 v[194:195], s[12:13], v[194:195]
	v_mul_f64_e32 v[166:167], s[0:1], v[202:203]
	v_add_f64_e64 v[187:188], v[183:184], -v[188:189]
	v_add_f64_e64 v[192:193], v[185:186], -v[192:193]
	v_add_f64_e32 v[164:165], v[172:173], v[164:165]
	v_add_f64_e32 v[168:169], v[234:235], v[168:169]
	v_add_f64_e64 v[172:173], v[174:175], -v[234:235]
	v_add_f64_e32 v[236:237], v[170:171], v[183:184]
	v_mul_f64_e32 v[174:175], s[14:15], v[196:197]
	v_mul_f64_e32 v[183:184], s[14:15], v[200:201]
	;; [unrolled: 1-line block ×4, first 2 shown]
	v_add_f64_e32 v[190:191], v[190:191], v[185:186]
	v_mul_f64_e32 v[170:171], s[0:1], v[204:205]
	v_add_f64_e32 v[234:235], v[222:223], v[232:233]
	v_fma_f64 v[166:167], v[162:163], s[10:11], -v[166:167]
	v_add_f64_e32 v[156:157], v[156:157], v[164:165]
	v_add_f64_e32 v[158:159], v[158:159], v[168:169]
	v_fma_f64 v[162:163], v[162:163], s[20:21], -v[160:161]
	v_fma_f64 v[160:161], v[202:203], s[0:1], v[160:161]
	v_fma_f64 v[170:171], v[206:207], s[10:11], -v[170:171]
	v_fma_f64 v[238:239], v[164:165], s[16:17], v[156:157]
	v_fma_f64 v[164:165], v[196:197], s[14:15], -v[194:195]
	v_mul_f64_e32 v[196:197], s[22:23], v[172:173]
	v_fma_f64 v[172:173], v[187:188], s[26:27], -v[174:175]
	v_fma_f64 v[174:175], v[192:193], s[26:27], -v[183:184]
	v_fma_f64 v[240:241], v[168:169], s[16:17], v[158:159]
	v_add_f64_e32 v[162:163], v[162:163], v[238:239]
	v_fma_f64 v[242:243], v[236:237], s[18:19], v[164:165]
	v_fma_f64 v[164:165], v[200:201], s[14:15], -v[198:199]
	v_fma_f64 v[183:184], v[206:207], s[20:21], -v[196:197]
	v_fma_f64 v[200:201], v[190:191], s[18:19], v[174:175]
	v_fma_f64 v[185:186], v[236:237], s[18:19], v[172:173]
	v_add_f64_e32 v[160:161], v[160:161], v[238:239]
	v_add_f64_e32 v[244:245], v[166:167], v[238:239]
	v_add_f64_e32 v[170:171], v[170:171], v[240:241]
	v_fma_f64 v[168:169], v[190:191], s[18:19], v[164:165]
	v_add_f64_e32 v[206:207], v[183:184], v[240:241]
	v_add_f64_e32 v[172:173], v[200:201], v[162:163]
	v_add_f64_e64 v[183:184], v[162:163], -v[200:201]
	v_fma_f64 v[162:163], v[187:188], s[24:25], v[194:195]
	v_fma_f64 v[187:188], v[192:193], s[24:25], v[198:199]
	;; [unrolled: 1-line block ×3, first 2 shown]
	v_add_f64_e32 v[199:200], v[254:255], v[230:231]
	v_add_f64_e32 v[203:204], v[218:219], v[248:249]
	v_add_f64_e32 v[166:167], v[242:243], v[170:171]
	v_add_f64_e64 v[170:171], v[170:171], -v[242:243]
	v_add_f64_e64 v[164:165], v[244:245], -v[168:169]
	;; [unrolled: 1-line block ×3, first 2 shown]
	v_add_f64_e32 v[185:186], v[185:186], v[206:207]
	v_add_f64_e32 v[205:206], v[226:227], v[252:253]
	v_fma_f64 v[162:163], v[236:237], s[18:19], v[162:163]
	v_fma_f64 v[194:195], v[190:191], s[18:19], v[187:188]
	v_add_f64_e32 v[196:197], v[192:193], v[240:241]
	v_add_f64_e32 v[168:169], v[168:169], v[244:245]
	s_delay_alu instid0(VALU_DEP_3) | instskip(NEXT) | instid1(VALU_DEP_3)
	v_add_f64_e32 v[187:188], v[194:195], v[160:161]
	v_add_f64_e64 v[189:190], v[196:197], -v[162:163]
	v_add_f64_e64 v[191:192], v[160:161], -v[194:195]
	v_add_f64_e32 v[193:194], v[162:163], v[196:197]
	v_add_f64_e32 v[195:196], v[208:209], v[228:229]
	v_add_f64_e32 v[197:198], v[220:221], v[250:251]
	ds_store_b128 v213, v[156:159]
	ds_store_b128 v213, v[187:190] offset:1536
	ds_store_b128 v213, v[172:175] offset:3072
	;; [unrolled: 1-line block ×6, first 2 shown]
	v_add_f64_e64 v[156:157], v[226:227], -v[252:253]
	v_add_f64_e64 v[158:159], v[232:233], -v[222:223]
	;; [unrolled: 1-line block ×4, first 2 shown]
	v_add_f64_e32 v[160:161], v[197:198], v[195:196]
	v_add_f64_e64 v[168:169], v[195:196], -v[199:200]
	v_add_f64_e64 v[172:173], v[199:200], -v[197:198]
	;; [unrolled: 1-line block ×6, first 2 shown]
	v_add_f64_e32 v[201:202], v[199:200], v[160:161]
	v_add_f64_e32 v[160:161], v[205:206], v[203:204]
	s_delay_alu instid0(VALU_DEP_1) | instskip(NEXT) | instid1(VALU_DEP_3)
	v_add_f64_e32 v[236:237], v[234:235], v[160:161]
	v_add_f64_e32 v[160:161], v[152:153], v[201:202]
	v_add_f64_e64 v[152:153], v[220:221], -v[250:251]
	s_delay_alu instid0(VALU_DEP_3) | instskip(SKIP_1) | instid1(VALU_DEP_4)
	v_add_f64_e32 v[162:163], v[154:155], v[236:237]
	v_add_f64_e64 v[154:155], v[230:231], -v[254:255]
	v_fma_f64 v[201:202], v[201:202], s[16:17], v[160:161]
	s_delay_alu instid0(VALU_DEP_3) | instskip(NEXT) | instid1(VALU_DEP_3)
	v_fma_f64 v[207:208], v[236:237], s[16:17], v[162:163]
	v_add_f64_e32 v[183:184], v[154:155], v[152:153]
	v_add_f64_e64 v[185:186], v[154:155], -v[152:153]
	v_add_f64_e64 v[152:153], v[152:153], -v[164:165]
	v_add_f64_e64 v[154:155], v[164:165], -v[154:155]
	s_delay_alu instid0(VALU_DEP_4)
	v_add_f64_e32 v[199:200], v[183:184], v[164:165]
	v_add_f64_e32 v[164:165], v[158:159], v[156:157]
	v_add_f64_e64 v[183:184], v[158:159], -v[156:157]
	v_add_f64_e64 v[156:157], v[156:157], -v[166:167]
	;; [unrolled: 1-line block ×3, first 2 shown]
	v_mul_f64_e32 v[203:204], s[12:13], v[185:186]
	v_mul_f64_e32 v[205:206], s[14:15], v[152:153]
	;; [unrolled: 1-line block ×3, first 2 shown]
	v_add_f64_e32 v[209:210], v[164:165], v[166:167]
	v_mul_f64_e32 v[183:184], s[12:13], v[183:184]
	v_mul_f64_e32 v[189:190], s[14:15], v[156:157]
	;; [unrolled: 1-line block ×3, first 2 shown]
	v_fma_f64 v[164:165], v[154:155], s[24:25], v[203:204]
	v_fma_f64 v[154:155], v[154:155], s[26:27], -v[205:206]
	v_fma_f64 v[185:186], v[170:171], s[20:21], -v[152:153]
	v_fma_f64 v[152:153], v[172:173], s[0:1], v[152:153]
	v_fma_f64 v[168:169], v[158:159], s[24:25], v[183:184]
	v_fma_f64 v[158:159], v[158:159], s[26:27], -v[189:190]
	v_fma_f64 v[195:196], v[193:194], s[20:21], -v[156:157]
	v_fma_f64 v[156:157], v[197:198], s[0:1], v[156:157]
	v_fma_f64 v[166:167], v[199:200], s[18:19], v[164:165]
	;; [unrolled: 1-line block ×3, first 2 shown]
	v_add_f64_e32 v[187:188], v[185:186], v[201:202]
	v_fma_f64 v[164:165], v[209:210], s[18:19], v[168:169]
	v_fma_f64 v[174:175], v[209:210], s[18:19], v[158:159]
	v_add_f64_e32 v[195:196], v[195:196], v[207:208]
	v_add_f64_e32 v[168:169], v[152:153], v[201:202]
	;; [unrolled: 1-line block ×3, first 2 shown]
	s_delay_alu instid0(VALU_DEP_4) | instskip(NEXT) | instid1(VALU_DEP_4)
	v_add_f64_e64 v[152:153], v[187:188], -v[174:175]
	v_add_f64_e32 v[154:155], v[191:192], v[195:196]
	s_delay_alu instid0(VALU_DEP_4) | instskip(NEXT) | instid1(VALU_DEP_4)
	v_add_f64_e64 v[156:157], v[168:169], -v[164:165]
	v_add_f64_e32 v[158:159], v[166:167], v[185:186]
	s_and_saveexec_b32 s12, vcc_lo
	s_cbranch_execz .LBB0_5
; %bb.4:
	v_mul_f64_e32 v[197:198], s[0:1], v[197:198]
	v_mul_f64_e32 v[193:194], s[10:11], v[193:194]
	;; [unrolled: 1-line block ×6, first 2 shown]
	v_add_f64_e64 v[203:204], v[205:206], -v[203:204]
	v_add_f64_e64 v[183:184], v[189:190], -v[183:184]
	;; [unrolled: 1-line block ×3, first 2 shown]
	v_add_f64_e32 v[164:165], v[164:165], v[168:169]
	v_add_f64_e64 v[193:194], v[193:194], -v[197:198]
	v_add_f64_e64 v[170:171], v[170:171], -v[172:173]
	;; [unrolled: 1-line block ×3, first 2 shown]
	v_add_f64_e32 v[189:190], v[199:200], v[203:204]
	v_add_f64_e32 v[183:184], v[209:210], v[183:184]
	;; [unrolled: 1-line block ×5, first 2 shown]
	s_delay_alu instid0(VALU_DEP_3) | instskip(SKIP_1) | instid1(VALU_DEP_4)
	v_add_f64_e64 v[185:186], v[193:194], -v[189:190]
	v_add_f64_e32 v[189:190], v[189:190], v[193:194]
	v_add_f64_e64 v[187:188], v[197:198], -v[183:184]
	v_add_f64_e32 v[183:184], v[183:184], v[197:198]
	ds_store_b128 v213, v[160:163] offset:896
	ds_store_b128 v213, v[164:167] offset:2432
	;; [unrolled: 1-line block ×7, first 2 shown]
.LBB0_5:
	s_wait_alu 0xfffe
	s_or_b32 exec_lo, exec_lo, s12
	global_wb scope:SCOPE_SE
	s_wait_dscnt 0x0
	s_barrier_signal -1
	s_barrier_wait -1
	global_inv scope:SCOPE_SE
	global_load_b128 v[160:163], v[181:182], off offset:10752
	ds_load_b128 v[164:167], v213
	ds_load_b128 v[168:171], v213 offset:896
	v_lshlrev_b32_e32 v222, 4, v211
	s_add_nc_u64 s[0:1], s[8:9], 0x2a00
	s_mov_b32 s9, 0x3febb67a
	s_wait_loadcnt_dscnt 0x1
	v_mul_f64_e32 v[172:173], v[166:167], v[162:163]
	v_mul_f64_e32 v[174:175], v[164:165], v[162:163]
	s_delay_alu instid0(VALU_DEP_2) | instskip(NEXT) | instid1(VALU_DEP_2)
	v_fma_f64 v[162:163], v[164:165], v[160:161], -v[172:173]
	v_fma_f64 v[164:165], v[166:167], v[160:161], v[174:175]
	global_load_b128 v[172:175], v222, s[0:1] offset:5376
	ds_load_b128 v[181:184], v213 offset:5376
	ds_load_b128 v[185:188], v213 offset:6272
	global_load_b128 v[189:192], v222, s[0:1] offset:4480
	s_wait_loadcnt_dscnt 0x101
	v_mul_f64_e32 v[160:161], v[183:184], v[174:175]
	v_mul_f64_e32 v[166:167], v[181:182], v[174:175]
	s_delay_alu instid0(VALU_DEP_2) | instskip(NEXT) | instid1(VALU_DEP_2)
	v_fma_f64 v[181:182], v[181:182], v[172:173], -v[160:161]
	v_fma_f64 v[183:184], v[183:184], v[172:173], v[166:167]
	s_clause 0x1
	global_load_b128 v[172:175], v222, s[0:1] offset:896
	global_load_b128 v[193:196], v222, s[0:1] offset:1792
	s_wait_loadcnt 0x1
	v_mul_f64_e32 v[160:161], v[170:171], v[174:175]
	v_mul_f64_e32 v[174:175], v[168:169], v[174:175]
	s_delay_alu instid0(VALU_DEP_2) | instskip(NEXT) | instid1(VALU_DEP_2)
	v_fma_f64 v[166:167], v[168:169], v[172:173], -v[160:161]
	v_fma_f64 v[168:169], v[170:171], v[172:173], v[174:175]
	s_clause 0x1
	global_load_b128 v[170:173], v222, s[0:1] offset:6272
	global_load_b128 v[197:200], v222, s[0:1] offset:7168
	s_wait_loadcnt_dscnt 0x100
	v_mul_f64_e32 v[160:161], v[187:188], v[172:173]
	v_mul_f64_e32 v[174:175], v[185:186], v[172:173]
	s_delay_alu instid0(VALU_DEP_2) | instskip(NEXT) | instid1(VALU_DEP_2)
	v_fma_f64 v[172:173], v[185:186], v[170:171], -v[160:161]
	v_fma_f64 v[174:175], v[187:188], v[170:171], v[174:175]
	ds_load_b128 v[185:188], v213 offset:1792
	ds_load_b128 v[201:204], v213 offset:2688
	s_wait_dscnt 0x1
	v_mul_f64_e32 v[160:161], v[187:188], v[195:196]
	v_mul_f64_e32 v[170:171], v[185:186], v[195:196]
	s_delay_alu instid0(VALU_DEP_2) | instskip(NEXT) | instid1(VALU_DEP_2)
	v_fma_f64 v[185:186], v[185:186], v[193:194], -v[160:161]
	v_fma_f64 v[187:188], v[187:188], v[193:194], v[170:171]
	ds_load_b128 v[193:196], v213 offset:7168
	ds_load_b128 v[205:208], v213 offset:8064
	s_wait_loadcnt_dscnt 0x1
	v_mul_f64_e32 v[160:161], v[195:196], v[199:200]
	v_mul_f64_e32 v[170:171], v[193:194], v[199:200]
	s_delay_alu instid0(VALU_DEP_2) | instskip(NEXT) | instid1(VALU_DEP_2)
	v_fma_f64 v[193:194], v[193:194], v[197:198], -v[160:161]
	v_fma_f64 v[195:196], v[195:196], v[197:198], v[170:171]
	s_clause 0x3
	global_load_b128 v[197:200], v222, s[0:1] offset:2688
	global_load_b128 v[248:251], v222, s[0:1] offset:3584
	;; [unrolled: 1-line block ×4, first 2 shown]
	s_wait_loadcnt 0x3
	v_mul_f64_e32 v[160:161], v[203:204], v[199:200]
	v_mul_f64_e32 v[170:171], v[201:202], v[199:200]
	s_delay_alu instid0(VALU_DEP_2) | instskip(NEXT) | instid1(VALU_DEP_2)
	v_fma_f64 v[199:200], v[201:202], v[197:198], -v[160:161]
	v_fma_f64 v[201:202], v[203:204], v[197:198], v[170:171]
	s_wait_loadcnt_dscnt 0x100
	v_mul_f64_e32 v[160:161], v[207:208], v[254:255]
	v_mul_f64_e32 v[170:171], v[205:206], v[254:255]
	s_delay_alu instid0(VALU_DEP_2) | instskip(NEXT) | instid1(VALU_DEP_2)
	v_fma_f64 v[203:204], v[205:206], v[252:253], -v[160:161]
	v_fma_f64 v[205:206], v[207:208], v[252:253], v[170:171]
	ds_load_b128 v[207:210], v213 offset:3584
	ds_load_b128 v[252:255], v213 offset:4480
	s_wait_dscnt 0x1
	v_mul_f64_e32 v[160:161], v[209:210], v[250:251]
	v_mul_f64_e32 v[170:171], v[207:208], v[250:251]
	s_delay_alu instid0(VALU_DEP_2) | instskip(NEXT) | instid1(VALU_DEP_2)
	v_fma_f64 v[207:208], v[207:208], v[248:249], -v[160:161]
	v_fma_f64 v[209:210], v[209:210], v[248:249], v[170:171]
	ds_load_b128 v[248:251], v213 offset:8960
	ds_load_b128 v[226:229], v213 offset:9856
	s_wait_loadcnt_dscnt 0x1
	v_mul_f64_e32 v[160:161], v[250:251], v[220:221]
	v_mul_f64_e32 v[170:171], v[248:249], v[220:221]
	s_delay_alu instid0(VALU_DEP_2) | instskip(NEXT) | instid1(VALU_DEP_2)
	v_fma_f64 v[248:249], v[248:249], v[218:219], -v[160:161]
	v_fma_f64 v[250:251], v[250:251], v[218:219], v[170:171]
	v_mul_f64_e32 v[160:161], v[254:255], v[191:192]
	v_mul_f64_e32 v[170:171], v[252:253], v[191:192]
	s_delay_alu instid0(VALU_DEP_2) | instskip(NEXT) | instid1(VALU_DEP_2)
	v_fma_f64 v[218:219], v[252:253], v[189:190], -v[160:161]
	v_fma_f64 v[220:221], v[254:255], v[189:190], v[170:171]
	global_load_b128 v[189:192], v222, s[0:1] offset:9856
	s_mov_b32 s0, 0xe8584caa
	s_mov_b32 s1, 0xbfebb67a
	s_wait_alu 0xfffe
	s_mov_b32 s8, s0
	s_wait_loadcnt_dscnt 0x0
	v_mul_f64_e32 v[160:161], v[228:229], v[191:192]
	v_mul_f64_e32 v[170:171], v[226:227], v[191:192]
	s_delay_alu instid0(VALU_DEP_2) | instskip(NEXT) | instid1(VALU_DEP_2)
	v_fma_f64 v[226:227], v[226:227], v[189:190], -v[160:161]
	v_fma_f64 v[228:229], v[228:229], v[189:190], v[170:171]
	ds_store_b128 v213, v[162:165]
	ds_store_b128 v213, v[166:169] offset:896
	ds_store_b128 v213, v[181:184] offset:5376
	;; [unrolled: 1-line block ×11, first 2 shown]
	global_wb scope:SCOPE_SE
	s_wait_dscnt 0x0
	s_barrier_signal -1
	s_barrier_wait -1
	global_inv scope:SCOPE_SE
	ds_load_b128 v[160:163], v213 offset:5376
	ds_load_b128 v[164:167], v213
	ds_load_b128 v[168:171], v213 offset:896
	ds_load_b128 v[172:175], v213 offset:6272
	;; [unrolled: 1-line block ×10, first 2 shown]
	global_wb scope:SCOPE_SE
	s_wait_dscnt 0x0
	s_barrier_signal -1
	s_barrier_wait -1
	global_inv scope:SCOPE_SE
	v_add_f64_e64 v[160:161], v[164:165], -v[160:161]
	v_add_f64_e64 v[162:163], v[166:167], -v[162:163]
	s_delay_alu instid0(VALU_DEP_2) | instskip(NEXT) | instid1(VALU_DEP_2)
	v_fma_f64 v[164:165], v[164:165], 2.0, -v[160:161]
	v_fma_f64 v[166:167], v[166:167], 2.0, -v[162:163]
	ds_store_b128 v214, v[160:163] offset:16
	ds_store_b128 v214, v[164:167]
	v_add_f64_e64 v[160:161], v[168:169], -v[172:173]
	v_add_f64_e64 v[162:163], v[170:171], -v[174:175]
	s_delay_alu instid0(VALU_DEP_2)
	v_fma_f64 v[164:165], v[168:169], 2.0, -v[160:161]
	scratch_load_b32 v168, off, off offset:48 th:TH_LOAD_LU ; 4-byte Folded Reload
	v_fma_f64 v[166:167], v[170:171], 2.0, -v[162:163]
	s_wait_loadcnt 0x0
	ds_store_b128 v168, v[164:167]
	ds_store_b128 v168, v[160:163] offset:16
	scratch_load_b32 v168, off, off offset:36 th:TH_LOAD_LU ; 4-byte Folded Reload
	v_add_f64_e64 v[160:161], v[181:182], -v[189:190]
	v_add_f64_e64 v[162:163], v[183:184], -v[191:192]
	s_delay_alu instid0(VALU_DEP_2) | instskip(NEXT) | instid1(VALU_DEP_2)
	v_fma_f64 v[164:165], v[181:182], 2.0, -v[160:161]
	v_fma_f64 v[166:167], v[183:184], 2.0, -v[162:163]
	s_wait_loadcnt 0x0
	ds_store_b128 v168, v[164:167]
	ds_store_b128 v168, v[160:163] offset:16
	scratch_load_b32 v168, off, off offset:28 th:TH_LOAD_LU ; 4-byte Folded Reload
	v_add_f64_e64 v[160:161], v[185:186], -v[193:194]
	v_add_f64_e64 v[162:163], v[187:188], -v[195:196]
	s_delay_alu instid0(VALU_DEP_2) | instskip(NEXT) | instid1(VALU_DEP_2)
	v_fma_f64 v[164:165], v[185:186], 2.0, -v[160:161]
	;; [unrolled: 9-line block ×4, first 2 shown]
	v_fma_f64 v[166:167], v[203:204], 2.0, -v[162:163]
	s_wait_loadcnt 0x0
	ds_store_b128 v168, v[164:167]
	ds_store_b128 v168, v[160:163] offset:16
	global_wb scope:SCOPE_SE
	s_wait_dscnt 0x0
	s_barrier_signal -1
	s_barrier_wait -1
	global_inv scope:SCOPE_SE
	ds_load_b128 v[160:163], v213 offset:5376
	ds_load_b128 v[164:167], v213 offset:6272
	s_wait_dscnt 0x1
	v_mul_f64_e32 v[168:169], v[50:51], v[162:163]
	s_delay_alu instid0(VALU_DEP_1) | instskip(SKIP_1) | instid1(VALU_DEP_1)
	v_fma_f64 v[168:169], v[48:49], v[160:161], v[168:169]
	v_mul_f64_e32 v[160:161], v[50:51], v[160:161]
	v_fma_f64 v[170:171], v[48:49], v[162:163], -v[160:161]
	s_wait_dscnt 0x0
	v_mul_f64_e32 v[160:161], v[50:51], v[166:167]
	s_delay_alu instid0(VALU_DEP_1) | instskip(SKIP_1) | instid1(VALU_DEP_1)
	v_fma_f64 v[189:190], v[48:49], v[164:165], v[160:161]
	v_mul_f64_e32 v[160:161], v[50:51], v[164:165]
	v_fma_f64 v[191:192], v[48:49], v[166:167], -v[160:161]
	ds_load_b128 v[160:163], v213 offset:7168
	ds_load_b128 v[164:167], v213 offset:8064
	s_wait_dscnt 0x1
	v_mul_f64_e32 v[172:173], v[50:51], v[162:163]
	s_delay_alu instid0(VALU_DEP_1) | instskip(SKIP_1) | instid1(VALU_DEP_1)
	v_fma_f64 v[193:194], v[48:49], v[160:161], v[172:173]
	v_mul_f64_e32 v[160:161], v[50:51], v[160:161]
	v_fma_f64 v[195:196], v[48:49], v[162:163], -v[160:161]
	s_wait_dscnt 0x0
	v_mul_f64_e32 v[160:161], v[50:51], v[166:167]
	s_delay_alu instid0(VALU_DEP_1) | instskip(SKIP_1) | instid1(VALU_DEP_1)
	v_fma_f64 v[197:198], v[48:49], v[164:165], v[160:161]
	v_mul_f64_e32 v[160:161], v[50:51], v[164:165]
	v_fma_f64 v[199:200], v[48:49], v[166:167], -v[160:161]
	ds_load_b128 v[160:163], v213 offset:8960
	ds_load_b128 v[164:167], v213 offset:9856
	s_wait_dscnt 0x1
	v_mul_f64_e32 v[172:173], v[50:51], v[162:163]
	s_delay_alu instid0(VALU_DEP_1) | instskip(SKIP_1) | instid1(VALU_DEP_1)
	v_fma_f64 v[201:202], v[48:49], v[160:161], v[172:173]
	v_mul_f64_e32 v[160:161], v[50:51], v[160:161]
	v_fma_f64 v[203:204], v[48:49], v[162:163], -v[160:161]
	s_wait_dscnt 0x0
	v_mul_f64_e32 v[160:161], v[50:51], v[166:167]
	v_mul_f64_e32 v[50:51], v[50:51], v[164:165]
	s_delay_alu instid0(VALU_DEP_2) | instskip(NEXT) | instid1(VALU_DEP_2)
	v_fma_f64 v[205:206], v[48:49], v[164:165], v[160:161]
	v_fma_f64 v[207:208], v[48:49], v[166:167], -v[50:51]
	ds_load_b128 v[48:51], v213
	ds_load_b128 v[160:163], v213 offset:896
	s_wait_dscnt 0x1
	v_add_f64_e64 v[164:165], v[48:49], -v[168:169]
	v_add_f64_e64 v[166:167], v[50:51], -v[170:171]
	ds_load_b128 v[168:171], v213 offset:1792
	ds_load_b128 v[172:175], v213 offset:2688
	;; [unrolled: 1-line block ×4, first 2 shown]
	global_wb scope:SCOPE_SE
	s_wait_dscnt 0x0
	s_barrier_signal -1
	s_barrier_wait -1
	global_inv scope:SCOPE_SE
	scratch_load_b32 v209, off, off offset:72 th:TH_LOAD_LU ; 4-byte Folded Reload
	v_fma_f64 v[48:49], v[48:49], 2.0, -v[164:165]
	v_fma_f64 v[50:51], v[50:51], 2.0, -v[166:167]
	s_wait_loadcnt 0x0
	ds_store_b128 v209, v[164:167] offset:32
	ds_store_b128 v209, v[48:51]
	scratch_load_b32 v164, off, off offset:60 th:TH_LOAD_LU ; 4-byte Folded Reload
	v_add_f64_e64 v[48:49], v[160:161], -v[189:190]
	v_add_f64_e64 v[50:51], v[162:163], -v[191:192]
	s_delay_alu instid0(VALU_DEP_2) | instskip(NEXT) | instid1(VALU_DEP_2)
	v_fma_f64 v[160:161], v[160:161], 2.0, -v[48:49]
	v_fma_f64 v[162:163], v[162:163], 2.0, -v[50:51]
	s_wait_loadcnt 0x0
	ds_store_b128 v164, v[160:163]
	ds_store_b128 v164, v[48:51] offset:32
	scratch_load_b32 v164, off, off offset:44 th:TH_LOAD_LU ; 4-byte Folded Reload
	v_add_f64_e64 v[48:49], v[168:169], -v[193:194]
	v_add_f64_e64 v[50:51], v[170:171], -v[195:196]
	s_delay_alu instid0(VALU_DEP_2) | instskip(NEXT) | instid1(VALU_DEP_2)
	v_fma_f64 v[160:161], v[168:169], 2.0, -v[48:49]
	v_fma_f64 v[162:163], v[170:171], 2.0, -v[50:51]
	s_wait_loadcnt 0x0
	ds_store_b128 v164, v[160:163]
	ds_store_b128 v164, v[48:51] offset:32
	;; [unrolled: 9-line block ×5, first 2 shown]
	global_wb scope:SCOPE_SE
	s_wait_dscnt 0x0
	s_barrier_signal -1
	s_barrier_wait -1
	global_inv scope:SCOPE_SE
	ds_load_b128 v[48:51], v213 offset:5376
	ds_load_b128 v[160:163], v213 offset:6272
	s_wait_dscnt 0x1
	v_mul_f64_e32 v[164:165], v[54:55], v[50:51]
	s_delay_alu instid0(VALU_DEP_1) | instskip(SKIP_1) | instid1(VALU_DEP_1)
	v_fma_f64 v[164:165], v[52:53], v[48:49], v[164:165]
	v_mul_f64_e32 v[48:49], v[54:55], v[48:49]
	v_fma_f64 v[166:167], v[52:53], v[50:51], -v[48:49]
	s_wait_dscnt 0x0
	v_mul_f64_e32 v[48:49], v[54:55], v[162:163]
	s_delay_alu instid0(VALU_DEP_1) | instskip(SKIP_1) | instid1(VALU_DEP_1)
	v_fma_f64 v[185:186], v[52:53], v[160:161], v[48:49]
	v_mul_f64_e32 v[48:49], v[54:55], v[160:161]
	v_fma_f64 v[187:188], v[52:53], v[162:163], -v[48:49]
	ds_load_b128 v[48:51], v213 offset:7168
	ds_load_b128 v[160:163], v213 offset:8064
	s_wait_dscnt 0x1
	v_mul_f64_e32 v[168:169], v[54:55], v[50:51]
	s_delay_alu instid0(VALU_DEP_1) | instskip(SKIP_1) | instid1(VALU_DEP_1)
	v_fma_f64 v[189:190], v[52:53], v[48:49], v[168:169]
	v_mul_f64_e32 v[48:49], v[54:55], v[48:49]
	v_fma_f64 v[191:192], v[52:53], v[50:51], -v[48:49]
	s_wait_dscnt 0x0
	v_mul_f64_e32 v[48:49], v[54:55], v[162:163]
	s_delay_alu instid0(VALU_DEP_1) | instskip(SKIP_1) | instid1(VALU_DEP_1)
	v_fma_f64 v[193:194], v[52:53], v[160:161], v[48:49]
	v_mul_f64_e32 v[48:49], v[54:55], v[160:161]
	v_fma_f64 v[195:196], v[52:53], v[162:163], -v[48:49]
	;; [unrolled: 14-line block ×3, first 2 shown]
	ds_load_b128 v[48:51], v213
	ds_load_b128 v[52:55], v213 offset:896
	s_wait_dscnt 0x1
	v_add_f64_e64 v[160:161], v[48:49], -v[164:165]
	v_add_f64_e64 v[162:163], v[50:51], -v[166:167]
	ds_load_b128 v[164:167], v213 offset:1792
	ds_load_b128 v[168:171], v213 offset:2688
	;; [unrolled: 1-line block ×4, first 2 shown]
	global_wb scope:SCOPE_SE
	s_wait_dscnt 0x0
	s_barrier_signal -1
	s_barrier_wait -1
	global_inv scope:SCOPE_SE
	scratch_load_b32 v205, off, off offset:76 th:TH_LOAD_LU ; 4-byte Folded Reload
	v_fma_f64 v[48:49], v[48:49], 2.0, -v[160:161]
	v_fma_f64 v[50:51], v[50:51], 2.0, -v[162:163]
	s_wait_loadcnt 0x0
	ds_store_b128 v205, v[160:163] offset:64
	ds_store_b128 v205, v[48:51]
	scratch_load_b32 v160, off, off offset:64 th:TH_LOAD_LU ; 4-byte Folded Reload
	v_add_f64_e64 v[48:49], v[52:53], -v[185:186]
	v_add_f64_e64 v[50:51], v[54:55], -v[187:188]
	s_delay_alu instid0(VALU_DEP_2) | instskip(NEXT) | instid1(VALU_DEP_2)
	v_fma_f64 v[52:53], v[52:53], 2.0, -v[48:49]
	v_fma_f64 v[54:55], v[54:55], 2.0, -v[50:51]
	s_wait_loadcnt 0x0
	ds_store_b128 v160, v[52:55]
	ds_store_b128 v160, v[48:51] offset:64
	scratch_load_b32 v160, off, off offset:52 th:TH_LOAD_LU ; 4-byte Folded Reload
	v_add_f64_e64 v[48:49], v[164:165], -v[189:190]
	v_add_f64_e64 v[50:51], v[166:167], -v[191:192]
	s_delay_alu instid0(VALU_DEP_2) | instskip(NEXT) | instid1(VALU_DEP_2)
	v_fma_f64 v[52:53], v[164:165], 2.0, -v[48:49]
	v_fma_f64 v[54:55], v[166:167], 2.0, -v[50:51]
	s_wait_loadcnt 0x0
	ds_store_b128 v160, v[52:55]
	ds_store_b128 v160, v[48:51] offset:64
	;; [unrolled: 9-line block ×5, first 2 shown]
	global_wb scope:SCOPE_SE
	s_wait_dscnt 0x0
	s_barrier_signal -1
	s_barrier_wait -1
	global_inv scope:SCOPE_SE
	ds_load_b128 v[48:51], v213 offset:5376
	ds_load_b128 v[52:55], v213 offset:6272
	s_wait_dscnt 0x1
	v_mul_f64_e32 v[160:161], v[58:59], v[50:51]
	s_delay_alu instid0(VALU_DEP_1) | instskip(SKIP_1) | instid1(VALU_DEP_1)
	v_fma_f64 v[160:161], v[56:57], v[48:49], v[160:161]
	v_mul_f64_e32 v[48:49], v[58:59], v[48:49]
	v_fma_f64 v[162:163], v[56:57], v[50:51], -v[48:49]
	s_wait_dscnt 0x0
	v_mul_f64_e32 v[48:49], v[58:59], v[54:55]
	s_delay_alu instid0(VALU_DEP_1) | instskip(SKIP_1) | instid1(VALU_DEP_1)
	v_fma_f64 v[181:182], v[56:57], v[52:53], v[48:49]
	v_mul_f64_e32 v[48:49], v[58:59], v[52:53]
	v_fma_f64 v[183:184], v[56:57], v[54:55], -v[48:49]
	ds_load_b128 v[48:51], v213 offset:7168
	ds_load_b128 v[52:55], v213 offset:8064
	s_wait_dscnt 0x1
	v_mul_f64_e32 v[164:165], v[58:59], v[50:51]
	s_delay_alu instid0(VALU_DEP_1) | instskip(SKIP_1) | instid1(VALU_DEP_1)
	v_fma_f64 v[185:186], v[56:57], v[48:49], v[164:165]
	v_mul_f64_e32 v[48:49], v[58:59], v[48:49]
	v_fma_f64 v[187:188], v[56:57], v[50:51], -v[48:49]
	s_wait_dscnt 0x0
	v_mul_f64_e32 v[48:49], v[58:59], v[54:55]
	s_delay_alu instid0(VALU_DEP_1) | instskip(SKIP_1) | instid1(VALU_DEP_1)
	v_fma_f64 v[189:190], v[56:57], v[52:53], v[48:49]
	v_mul_f64_e32 v[48:49], v[58:59], v[52:53]
	v_fma_f64 v[191:192], v[56:57], v[54:55], -v[48:49]
	;; [unrolled: 14-line block ×3, first 2 shown]
	ds_load_b128 v[48:51], v213
	ds_load_b128 v[52:55], v213 offset:896
	s_wait_dscnt 0x1
	v_add_f64_e64 v[56:57], v[48:49], -v[160:161]
	v_add_f64_e64 v[58:59], v[50:51], -v[162:163]
	ds_load_b128 v[160:163], v213 offset:1792
	ds_load_b128 v[164:167], v213 offset:2688
	;; [unrolled: 1-line block ×4, first 2 shown]
	global_wb scope:SCOPE_SE
	s_wait_dscnt 0x0
	s_barrier_signal -1
	s_barrier_wait -1
	global_inv scope:SCOPE_SE
	scratch_load_b32 v201, off, off offset:100 th:TH_LOAD_LU ; 4-byte Folded Reload
	v_fma_f64 v[48:49], v[48:49], 2.0, -v[56:57]
	v_fma_f64 v[50:51], v[50:51], 2.0, -v[58:59]
	s_wait_loadcnt 0x0
	ds_store_b128 v201, v[56:59] offset:128
	ds_store_b128 v201, v[48:51]
	scratch_load_b32 v56, off, off offset:92 th:TH_LOAD_LU ; 4-byte Folded Reload
	v_add_f64_e64 v[48:49], v[52:53], -v[181:182]
	v_add_f64_e64 v[50:51], v[54:55], -v[183:184]
	s_delay_alu instid0(VALU_DEP_2) | instskip(NEXT) | instid1(VALU_DEP_2)
	v_fma_f64 v[52:53], v[52:53], 2.0, -v[48:49]
	v_fma_f64 v[54:55], v[54:55], 2.0, -v[50:51]
	s_wait_loadcnt 0x0
	ds_store_b128 v56, v[52:55]
	ds_store_b128 v56, v[48:51] offset:128
	scratch_load_b32 v56, off, off offset:84 th:TH_LOAD_LU ; 4-byte Folded Reload
	v_add_f64_e64 v[48:49], v[160:161], -v[185:186]
	v_add_f64_e64 v[50:51], v[162:163], -v[187:188]
	s_delay_alu instid0(VALU_DEP_2) | instskip(NEXT) | instid1(VALU_DEP_2)
	v_fma_f64 v[52:53], v[160:161], 2.0, -v[48:49]
	v_fma_f64 v[54:55], v[162:163], 2.0, -v[50:51]
	s_wait_loadcnt 0x0
	ds_store_b128 v56, v[52:55]
	ds_store_b128 v56, v[48:51] offset:128
	;; [unrolled: 9-line block ×5, first 2 shown]
	global_wb scope:SCOPE_SE
	s_wait_dscnt 0x0
	s_barrier_signal -1
	s_barrier_wait -1
	global_inv scope:SCOPE_SE
	ds_load_b128 v[48:51], v213 offset:8064
	ds_load_b128 v[52:55], v213 offset:7168
	s_wait_dscnt 0x1
	v_mul_f64_e32 v[56:57], v[78:79], v[50:51]
	s_delay_alu instid0(VALU_DEP_1) | instskip(SKIP_1) | instid1(VALU_DEP_1)
	v_fma_f64 v[164:165], v[76:77], v[48:49], v[56:57]
	v_mul_f64_e32 v[48:49], v[78:79], v[48:49]
	v_fma_f64 v[166:167], v[76:77], v[50:51], -v[48:49]
	ds_load_b128 v[48:51], v213 offset:5376
	ds_load_b128 v[56:59], v213 offset:6272
	s_wait_dscnt 0x1
	v_mul_f64_e32 v[76:77], v[66:67], v[50:51]
	s_delay_alu instid0(VALU_DEP_1) | instskip(SKIP_1) | instid1(VALU_DEP_1)
	v_fma_f64 v[76:77], v[64:65], v[48:49], v[76:77]
	v_mul_f64_e32 v[48:49], v[66:67], v[48:49]
	v_fma_f64 v[78:79], v[64:65], v[50:51], -v[48:49]
	v_mul_f64_e32 v[48:49], v[66:67], v[54:55]
	s_delay_alu instid0(VALU_DEP_1) | instskip(SKIP_1) | instid1(VALU_DEP_1)
	v_fma_f64 v[168:169], v[64:65], v[52:53], v[48:49]
	v_mul_f64_e32 v[48:49], v[66:67], v[52:53]
	v_fma_f64 v[170:171], v[64:65], v[54:55], -v[48:49]
	ds_load_b128 v[48:51], v213 offset:8960
	ds_load_b128 v[52:55], v213 offset:9856
	s_wait_dscnt 0x1
	v_mul_f64_e32 v[160:161], v[66:67], v[50:51]
	s_delay_alu instid0(VALU_DEP_1) | instskip(SKIP_1) | instid1(VALU_DEP_1)
	v_fma_f64 v[172:173], v[64:65], v[48:49], v[160:161]
	v_mul_f64_e32 v[48:49], v[66:67], v[48:49]
	v_fma_f64 v[174:175], v[64:65], v[50:51], -v[48:49]
	s_wait_dscnt 0x0
	v_mul_f64_e32 v[48:49], v[179:180], v[54:55]
	v_mul_f64_e32 v[50:51], v[179:180], v[52:53]
	s_delay_alu instid0(VALU_DEP_2) | instskip(NEXT) | instid1(VALU_DEP_2)
	v_fma_f64 v[179:180], v[60:61], v[52:53], v[48:49]
	v_fma_f64 v[181:182], v[60:61], v[54:55], -v[50:51]
	v_mul_f64_e32 v[48:49], v[62:63], v[58:59]
	v_mul_f64_e32 v[50:51], v[62:63], v[56:57]
	s_delay_alu instid0(VALU_DEP_2) | instskip(NEXT) | instid1(VALU_DEP_2)
	v_fma_f64 v[183:184], v[177:178], v[56:57], v[48:49]
	v_fma_f64 v[177:178], v[177:178], v[58:59], -v[50:51]
	ds_load_b128 v[48:51], v213
	ds_load_b128 v[52:55], v213 offset:896
	s_wait_dscnt 0x1
	v_add_f64_e64 v[56:57], v[48:49], -v[76:77]
	v_add_f64_e64 v[58:59], v[50:51], -v[78:79]
	ds_load_b128 v[60:63], v213 offset:1792
	ds_load_b128 v[64:67], v213 offset:2688
	;; [unrolled: 1-line block ×4, first 2 shown]
	global_wb scope:SCOPE_SE
	s_wait_dscnt 0x0
	s_barrier_signal -1
	s_barrier_wait -1
	global_inv scope:SCOPE_SE
	v_fma_f64 v[48:49], v[48:49], 2.0, -v[56:57]
	v_fma_f64 v[50:51], v[50:51], 2.0, -v[58:59]
	ds_store_b128 v247, v[56:59] offset:256
	ds_store_b128 v247, v[48:51]
	v_add_f64_e64 v[48:49], v[52:53], -v[183:184]
	v_add_f64_e64 v[50:51], v[54:55], -v[177:178]
	s_delay_alu instid0(VALU_DEP_2) | instskip(NEXT) | instid1(VALU_DEP_2)
	v_fma_f64 v[52:53], v[52:53], 2.0, -v[48:49]
	v_fma_f64 v[54:55], v[54:55], 2.0, -v[50:51]
	ds_store_b128 v246, v[52:55]
	ds_store_b128 v246, v[48:51] offset:256
	v_add_f64_e64 v[48:49], v[60:61], -v[168:169]
	v_add_f64_e64 v[50:51], v[62:63], -v[170:171]
	s_delay_alu instid0(VALU_DEP_2) | instskip(NEXT) | instid1(VALU_DEP_2)
	v_fma_f64 v[52:53], v[60:61], 2.0, -v[48:49]
	v_fma_f64 v[54:55], v[62:63], 2.0, -v[50:51]
	ds_store_b128 v224, v[52:55]
	ds_store_b128 v224, v[48:51] offset:256
	;; [unrolled: 7-line block ×3, first 2 shown]
	scratch_load_b32 v56, off, off offset:96 th:TH_LOAD_LU ; 4-byte Folded Reload
	v_add_f64_e64 v[48:49], v[76:77], -v[172:173]
	v_add_f64_e64 v[50:51], v[78:79], -v[174:175]
	s_delay_alu instid0(VALU_DEP_2) | instskip(NEXT) | instid1(VALU_DEP_2)
	v_fma_f64 v[52:53], v[76:77], 2.0, -v[48:49]
	v_fma_f64 v[54:55], v[78:79], 2.0, -v[50:51]
	s_wait_loadcnt 0x0
	ds_store_b128 v56, v[52:55]
	ds_store_b128 v56, v[48:51] offset:256
	scratch_load_b32 v56, off, off offset:88 th:TH_LOAD_LU ; 4-byte Folded Reload
	v_add_f64_e64 v[48:49], v[160:161], -v[179:180]
	v_add_f64_e64 v[50:51], v[162:163], -v[181:182]
	s_delay_alu instid0(VALU_DEP_2) | instskip(NEXT) | instid1(VALU_DEP_2)
	v_fma_f64 v[52:53], v[160:161], 2.0, -v[48:49]
	v_fma_f64 v[54:55], v[162:163], 2.0, -v[50:51]
	s_wait_loadcnt 0x0
	ds_store_b128 v56, v[52:55]
	ds_store_b128 v56, v[48:51] offset:256
	global_wb scope:SCOPE_SE
	s_wait_dscnt 0x0
	s_barrier_signal -1
	s_barrier_wait -1
	global_inv scope:SCOPE_SE
	ds_load_b128 v[48:51], v213 offset:3584
	ds_load_b128 v[52:55], v213 offset:4480
	s_wait_dscnt 0x1
	v_mul_f64_e32 v[56:57], v[114:115], v[50:51]
	s_delay_alu instid0(VALU_DEP_1) | instskip(SKIP_1) | instid1(VALU_DEP_1)
	v_fma_f64 v[60:61], v[112:113], v[48:49], v[56:57]
	v_mul_f64_e32 v[48:49], v[114:115], v[48:49]
	v_fma_f64 v[62:63], v[112:113], v[50:51], -v[48:49]
	ds_load_b128 v[48:51], v213 offset:7168
	ds_load_b128 v[56:59], v213 offset:8064
	s_wait_dscnt 0x1
	v_mul_f64_e32 v[64:65], v[98:99], v[50:51]
	s_delay_alu instid0(VALU_DEP_1) | instskip(SKIP_1) | instid1(VALU_DEP_1)
	v_fma_f64 v[64:65], v[96:97], v[48:49], v[64:65]
	v_mul_f64_e32 v[48:49], v[98:99], v[48:49]
	v_fma_f64 v[66:67], v[96:97], v[50:51], -v[48:49]
	v_mul_f64_e32 v[48:49], v[126:127], v[54:55]
	s_delay_alu instid0(VALU_DEP_1) | instskip(SKIP_1) | instid1(VALU_DEP_1)
	v_fma_f64 v[112:113], v[124:125], v[52:53], v[48:49]
	v_mul_f64_e32 v[48:49], v[126:127], v[52:53]
	v_fma_f64 v[96:97], v[124:125], v[54:55], -v[48:49]
	s_wait_dscnt 0x0
	v_mul_f64_e32 v[48:49], v[122:123], v[58:59]
	s_delay_alu instid0(VALU_DEP_1) | instskip(SKIP_1) | instid1(VALU_DEP_1)
	v_fma_f64 v[114:115], v[120:121], v[56:57], v[48:49]
	v_mul_f64_e32 v[48:49], v[122:123], v[56:57]
	v_fma_f64 v[98:99], v[120:121], v[58:59], -v[48:49]
	ds_load_b128 v[48:51], v213 offset:5376
	ds_load_b128 v[52:55], v213 offset:6272
	s_wait_dscnt 0x1
	v_mul_f64_e32 v[56:57], v[118:119], v[50:51]
	s_delay_alu instid0(VALU_DEP_1) | instskip(SKIP_1) | instid1(VALU_DEP_1)
	v_fma_f64 v[120:121], v[116:117], v[48:49], v[56:57]
	v_mul_f64_e32 v[48:49], v[118:119], v[48:49]
	v_fma_f64 v[116:117], v[116:117], v[50:51], -v[48:49]
	ds_load_b128 v[48:51], v213 offset:8960
	ds_load_b128 v[56:59], v213 offset:9856
	s_wait_dscnt 0x1
	v_mul_f64_e32 v[76:77], v[106:107], v[50:51]
	s_delay_alu instid0(VALU_DEP_1) | instskip(SKIP_1) | instid1(VALU_DEP_1)
	v_fma_f64 v[118:119], v[104:105], v[48:49], v[76:77]
	v_mul_f64_e32 v[48:49], v[106:107], v[48:49]
	v_fma_f64 v[122:123], v[104:105], v[50:51], -v[48:49]
	v_mul_f64_e32 v[48:49], v[110:111], v[54:55]
	s_delay_alu instid0(VALU_DEP_1) | instskip(SKIP_1) | instid1(VALU_DEP_1)
	v_fma_f64 v[124:125], v[108:109], v[52:53], v[48:49]
	v_mul_f64_e32 v[48:49], v[110:111], v[52:53]
	v_fma_f64 v[126:127], v[108:109], v[54:55], -v[48:49]
	s_wait_dscnt 0x0
	v_mul_f64_e32 v[48:49], v[102:103], v[58:59]
	s_delay_alu instid0(VALU_DEP_1) | instskip(SKIP_2) | instid1(VALU_DEP_2)
	v_fma_f64 v[160:161], v[100:101], v[56:57], v[48:49]
	v_mul_f64_e32 v[48:49], v[102:103], v[56:57]
	v_add_f64_e32 v[56:57], v[60:61], v[64:65]
	v_fma_f64 v[162:163], v[100:101], v[58:59], -v[48:49]
	ds_load_b128 v[48:51], v213
	ds_load_b128 v[52:55], v213 offset:896
	s_wait_dscnt 0x1
	v_fma_f64 v[58:59], v[56:57], -0.5, v[48:49]
	v_add_f64_e32 v[56:57], v[62:63], v[66:67]
	v_add_f64_e32 v[48:49], v[48:49], v[60:61]
	s_delay_alu instid0(VALU_DEP_2) | instskip(SKIP_2) | instid1(VALU_DEP_4)
	v_fma_f64 v[76:77], v[56:57], -0.5, v[50:51]
	v_add_f64_e32 v[50:51], v[50:51], v[62:63]
	v_add_f64_e64 v[62:63], v[62:63], -v[66:67]
	v_add_f64_e32 v[48:49], v[48:49], v[64:65]
	v_add_f64_e64 v[64:65], v[60:61], -v[64:65]
	s_delay_alu instid0(VALU_DEP_4) | instskip(NEXT) | instid1(VALU_DEP_4)
	v_add_f64_e32 v[50:51], v[50:51], v[66:67]
	v_fma_f64 v[56:57], v[62:63], s[0:1], v[58:59]
	s_wait_alu 0xfffe
	v_fma_f64 v[60:61], v[62:63], s[8:9], v[58:59]
	s_delay_alu instid0(VALU_DEP_4)
	v_fma_f64 v[58:59], v[64:65], s[8:9], v[76:77]
	v_fma_f64 v[62:63], v[64:65], s[0:1], v[76:77]
	ds_load_b128 v[64:67], v213 offset:1792
	ds_load_b128 v[76:79], v213 offset:2688
	global_wb scope:SCOPE_SE
	s_wait_dscnt 0x0
	s_barrier_signal -1
	s_barrier_wait -1
	global_inv scope:SCOPE_SE
	ds_store_b128 v225, v[48:51]
	ds_store_b128 v225, v[56:59] offset:512
	ds_store_b128 v225, v[60:63] offset:1024
	v_add_f64_e32 v[48:49], v[112:113], v[114:115]
	v_add_f64_e32 v[50:51], v[96:97], v[98:99]
	v_add_f64_e64 v[56:57], v[96:97], -v[98:99]
	v_add_f64_e64 v[58:59], v[120:121], -v[118:119]
	v_add_f64_e32 v[60:61], v[76:77], v[124:125]
	v_fma_f64 v[48:49], v[48:49], -0.5, v[52:53]
	v_add_f64_e32 v[52:53], v[52:53], v[112:113]
	v_fma_f64 v[50:51], v[50:51], -0.5, v[54:55]
	v_add_f64_e32 v[54:55], v[54:55], v[96:97]
	s_delay_alu instid0(VALU_DEP_4) | instskip(NEXT) | instid1(VALU_DEP_4)
	v_fma_f64 v[100:101], v[56:57], s[0:1], v[48:49]
	v_add_f64_e32 v[96:97], v[52:53], v[114:115]
	v_add_f64_e64 v[52:53], v[112:113], -v[114:115]
	v_fma_f64 v[104:105], v[56:57], s[8:9], v[48:49]
	v_add_f64_e32 v[48:49], v[120:121], v[118:119]
	v_add_f64_e32 v[98:99], v[54:55], v[98:99]
	v_add_f64_e64 v[56:57], v[116:117], -v[122:123]
	v_fma_f64 v[102:103], v[52:53], s[8:9], v[50:51]
	v_fma_f64 v[106:107], v[52:53], s[0:1], v[50:51]
	v_fma_f64 v[50:51], v[48:49], -0.5, v[64:65]
	v_add_f64_e32 v[48:49], v[116:117], v[122:123]
	v_add_f64_e32 v[52:53], v[64:65], v[120:121]
	v_add_f64_e64 v[64:65], v[126:127], -v[162:163]
	s_delay_alu instid0(VALU_DEP_3) | instskip(SKIP_1) | instid1(VALU_DEP_4)
	v_fma_f64 v[54:55], v[48:49], -0.5, v[66:67]
	v_add_f64_e32 v[48:49], v[66:67], v[116:117]
	v_add_f64_e32 v[108:109], v[52:53], v[118:119]
	v_fma_f64 v[52:53], v[56:57], s[8:9], v[50:51]
	s_delay_alu instid0(VALU_DEP_3) | instskip(SKIP_4) | instid1(VALU_DEP_3)
	v_add_f64_e32 v[110:111], v[48:49], v[122:123]
	v_fma_f64 v[48:49], v[56:57], s[0:1], v[50:51]
	v_add_f64_e32 v[56:57], v[124:125], v[160:161]
	v_fma_f64 v[50:51], v[58:59], s[8:9], v[54:55]
	v_fma_f64 v[54:55], v[58:59], s[0:1], v[54:55]
	v_fma_f64 v[62:63], v[56:57], -0.5, v[76:77]
	v_add_f64_e32 v[56:57], v[126:127], v[162:163]
	v_add_f64_e64 v[76:77], v[124:125], -v[160:161]
	s_delay_alu instid0(VALU_DEP_2) | instskip(SKIP_1) | instid1(VALU_DEP_1)
	v_fma_f64 v[66:67], v[56:57], -0.5, v[78:79]
	v_add_f64_e32 v[56:57], v[78:79], v[126:127]
	v_add_f64_e32 v[58:59], v[56:57], v[162:163]
	;; [unrolled: 1-line block ×3, first 2 shown]
	v_fma_f64 v[60:61], v[64:65], s[0:1], v[62:63]
	v_fma_f64 v[64:65], v[64:65], s[8:9], v[62:63]
	v_fma_f64 v[62:63], v[76:77], s[8:9], v[66:67]
	v_fma_f64 v[66:67], v[76:77], s[0:1], v[66:67]
	ds_store_b128 v217, v[96:99]
	ds_store_b128 v217, v[100:103] offset:512
	ds_store_b128 v217, v[104:107] offset:1024
	ds_store_b128 v216, v[108:111]
	ds_store_b128 v216, v[48:51] offset:512
	ds_store_b128 v216, v[52:55] offset:1024
	;; [unrolled: 3-line block ×3, first 2 shown]
	global_wb scope:SCOPE_SE
	s_wait_dscnt 0x0
	s_barrier_signal -1
	s_barrier_wait -1
	global_inv scope:SCOPE_SE
	ds_load_b128 v[76:79], v213
	ds_load_b128 v[112:115], v213 offset:1536
	ds_load_b128 v[108:111], v213 offset:3072
	;; [unrolled: 1-line block ×6, first 2 shown]
	s_and_saveexec_b32 s0, vcc_lo
	s_cbranch_execz .LBB0_7
; %bb.6:
	ds_load_b128 v[48:51], v213 offset:896
	ds_load_b128 v[52:55], v213 offset:2432
	ds_load_b128 v[56:59], v213 offset:3968
	ds_load_b128 v[60:63], v213 offset:5504
	ds_load_b128 v[64:67], v213 offset:7040
	ds_load_b128 v[152:155], v213 offset:8576
	ds_load_b128 v[156:159], v213 offset:10112
.LBB0_7:
	s_wait_alu 0xfffe
	s_or_b32 exec_lo, exec_lo, s0
	s_wait_dscnt 0x5
	v_mul_f64_e32 v[120:121], v[130:131], v[114:115]
	v_mul_f64_e32 v[122:123], v[130:131], v[112:113]
	s_wait_dscnt 0x4
	v_mul_f64_e32 v[124:125], v[134:135], v[110:111]
	v_mul_f64_e32 v[126:127], v[134:135], v[108:109]
	;; [unrolled: 3-line block ×3, first 2 shown]
	v_mul_f64_e32 v[138:139], v[142:143], v[106:107]
	v_mul_f64_e32 v[142:143], v[142:143], v[104:105]
	;; [unrolled: 1-line block ×6, first 2 shown]
	s_mov_b32 s8, 0x37e14327
	s_mov_b32 s12, 0xe976ee23
	s_mov_b32 s9, 0x3fe948f6
	s_mov_b32 s13, 0x3fe11646
	s_mov_b32 s0, 0x429ad128
	s_mov_b32 s1, 0xbfebfeb5
	s_mov_b32 s16, 0x36b3c0b5
	s_mov_b32 s17, 0x3fac98ee
	s_mov_b32 s10, 0xaaaaaaaa
	s_mov_b32 s20, 0xb247c609
	s_mov_b32 s11, 0xbff2aaaa
	s_mov_b32 s14, 0x5476071b
	s_mov_b32 s21, 0xbfd5d0dc
	s_mov_b32 s15, 0x3fe77f67
	s_mov_b32 s19, 0xbfe77f67
	s_mov_b32 s23, 0x3fd5d0dc
	s_wait_alu 0xfffe
	s_mov_b32 s18, s14
	s_mov_b32 s22, s20
	;; [unrolled: 1-line block ×4, first 2 shown]
	v_fma_f64 v[112:113], v[128:129], v[112:113], v[120:121]
	v_fma_f64 v[114:115], v[128:129], v[114:115], -v[122:123]
	v_fma_f64 v[108:109], v[132:133], v[108:109], v[124:125]
	v_fma_f64 v[110:111], v[132:133], v[110:111], -v[126:127]
	;; [unrolled: 2-line block ×6, first 2 shown]
	v_add_f64_e32 v[120:121], v[112:113], v[116:117]
	v_add_f64_e32 v[122:123], v[114:115], v[118:119]
	v_add_f64_e32 v[124:125], v[108:109], v[104:105]
	v_add_f64_e32 v[126:127], v[110:111], v[106:107]
	v_add_f64_e64 v[104:105], v[108:109], -v[104:105]
	v_add_f64_e64 v[106:107], v[110:111], -v[106:107]
	v_add_f64_e32 v[108:109], v[100:101], v[96:97]
	v_add_f64_e32 v[110:111], v[102:103], v[98:99]
	v_add_f64_e64 v[96:97], v[96:97], -v[100:101]
	v_add_f64_e64 v[98:99], v[98:99], -v[102:103]
	;; [unrolled: 1-line block ×4, first 2 shown]
	v_add_f64_e32 v[112:113], v[124:125], v[120:121]
	v_add_f64_e32 v[114:115], v[126:127], v[122:123]
	v_add_f64_e64 v[116:117], v[120:121], -v[108:109]
	v_add_f64_e64 v[118:119], v[122:123], -v[110:111]
	;; [unrolled: 1-line block ×6, first 2 shown]
	v_add_f64_e32 v[104:105], v[96:97], v[104:105]
	v_add_f64_e32 v[106:107], v[98:99], v[106:107]
	v_add_f64_e64 v[96:97], v[100:101], -v[96:97]
	v_add_f64_e64 v[98:99], v[102:103], -v[98:99]
	;; [unrolled: 1-line block ×4, first 2 shown]
	v_add_f64_e32 v[112:113], v[108:109], v[112:113]
	v_add_f64_e32 v[114:115], v[110:111], v[114:115]
	v_add_f64_e64 v[108:109], v[108:109], -v[124:125]
	v_add_f64_e64 v[110:111], v[110:111], -v[126:127]
	v_mul_f64_e32 v[116:117], s[8:9], v[116:117]
	v_mul_f64_e32 v[118:119], s[8:9], v[118:119]
	;; [unrolled: 1-line block ×6, first 2 shown]
	v_add_f64_e32 v[100:101], v[104:105], v[100:101]
	v_add_f64_e32 v[102:103], v[106:107], v[102:103]
	;; [unrolled: 1-line block ×4, first 2 shown]
	v_mul_f64_e32 v[124:125], s[16:17], v[108:109]
	v_mul_f64_e32 v[126:127], s[16:17], v[110:111]
	v_fma_f64 v[104:105], v[108:109], s[16:17], v[116:117]
	v_fma_f64 v[106:107], v[110:111], s[16:17], v[118:119]
	;; [unrolled: 1-line block ×4, first 2 shown]
	v_fma_f64 v[128:129], v[132:133], s[0:1], -v[128:129]
	v_fma_f64 v[130:131], v[134:135], s[0:1], -v[130:131]
	s_wait_alu 0xfffe
	v_fma_f64 v[96:97], v[96:97], s[22:23], -v[136:137]
	v_fma_f64 v[98:99], v[98:99], s[22:23], -v[138:139]
	;; [unrolled: 1-line block ×4, first 2 shown]
	v_fma_f64 v[112:113], v[112:113], s[10:11], v[76:77]
	v_fma_f64 v[114:115], v[114:115], s[10:11], v[78:79]
	v_fma_f64 v[120:121], v[120:121], s[14:15], -v[124:125]
	v_fma_f64 v[122:123], v[122:123], s[14:15], -v[126:127]
	v_fma_f64 v[124:125], v[100:101], s[24:25], v[108:109]
	v_fma_f64 v[126:127], v[102:103], s[24:25], v[110:111]
	;; [unrolled: 1-line block ×6, first 2 shown]
	v_add_f64_e32 v[132:133], v[104:105], v[112:113]
	v_add_f64_e32 v[134:135], v[106:107], v[114:115]
	;; [unrolled: 1-line block ×7, first 2 shown]
	v_add_f64_e64 v[98:99], v[134:135], -v[124:125]
	v_add_f64_e32 v[100:101], v[130:131], v[116:117]
	v_add_f64_e64 v[102:103], v[118:119], -v[128:129]
	v_add_f64_e64 v[104:105], v[112:113], -v[108:109]
	v_add_f64_e32 v[106:107], v[110:111], v[114:115]
	v_add_f64_e32 v[108:109], v[108:109], v[112:113]
	v_add_f64_e64 v[110:111], v[114:115], -v[110:111]
	v_add_f64_e64 v[112:113], v[116:117], -v[130:131]
	v_add_f64_e32 v[114:115], v[128:129], v[118:119]
	v_add_f64_e64 v[116:117], v[132:133], -v[126:127]
	v_add_f64_e32 v[118:119], v[124:125], v[134:135]
	ds_store_b128 v213, v[76:79]
	ds_store_b128 v213, v[96:99] offset:1536
	ds_store_b128 v213, v[100:103] offset:3072
	;; [unrolled: 1-line block ×6, first 2 shown]
	s_and_saveexec_b32 s26, vcc_lo
	s_cbranch_execz .LBB0_9
; %bb.8:
	v_mul_f64_e32 v[76:77], v[82:83], v[156:157]
	v_mul_f64_e32 v[78:79], v[70:71], v[52:53]
	;; [unrolled: 1-line block ×12, first 2 shown]
	v_fma_f64 v[76:77], v[80:81], v[158:159], -v[76:77]
	v_fma_f64 v[54:55], v[68:69], v[54:55], -v[78:79]
	;; [unrolled: 1-line block ×4, first 2 shown]
	v_fma_f64 v[52:53], v[68:69], v[52:53], v[70:71]
	v_fma_f64 v[68:69], v[80:81], v[156:157], v[82:83]
	;; [unrolled: 1-line block ×6, first 2 shown]
	v_fma_f64 v[62:63], v[88:89], v[62:63], -v[90:91]
	v_fma_f64 v[66:67], v[92:93], v[66:67], -v[94:95]
	v_add_f64_e32 v[72:73], v[54:55], v[76:77]
	v_add_f64_e64 v[54:55], v[54:55], -v[76:77]
	v_add_f64_e32 v[74:75], v[58:59], v[78:79]
	v_add_f64_e64 v[58:59], v[58:59], -v[78:79]
	v_add_f64_e32 v[80:81], v[52:53], v[68:69]
	v_add_f64_e64 v[52:53], v[52:53], -v[68:69]
	v_add_f64_e32 v[82:83], v[56:57], v[70:71]
	v_add_f64_e64 v[56:57], v[56:57], -v[70:71]
	v_add_f64_e64 v[84:85], v[64:65], -v[60:61]
	v_add_f64_e32 v[60:61], v[60:61], v[64:65]
	v_add_f64_e32 v[70:71], v[62:63], v[66:67]
	v_add_f64_e64 v[62:63], v[66:67], -v[62:63]
	v_add_f64_e32 v[64:65], v[74:75], v[72:73]
	v_add_f64_e64 v[90:91], v[58:59], -v[54:55]
	;; [unrolled: 2-line block ×3, first 2 shown]
	v_add_f64_e64 v[68:69], v[84:85], -v[56:57]
	v_add_f64_e64 v[78:79], v[80:81], -v[60:61]
	v_add_f64_e64 v[76:77], v[72:73], -v[70:71]
	v_add_f64_e64 v[88:89], v[62:63], -v[58:59]
	v_add_f64_e64 v[92:93], v[52:53], -v[84:85]
	v_add_f64_e32 v[56:57], v[84:85], v[56:57]
	v_add_f64_e32 v[58:59], v[62:63], v[58:59]
	v_add_f64_e64 v[62:63], v[54:55], -v[62:63]
	v_add_f64_e64 v[72:73], v[74:75], -v[72:73]
	;; [unrolled: 1-line block ×3, first 2 shown]
	v_add_f64_e32 v[64:65], v[70:71], v[64:65]
	v_add_f64_e64 v[70:71], v[70:71], -v[74:75]
	v_mul_f64_e32 v[94:95], s[0:1], v[90:91]
	v_add_f64_e32 v[66:67], v[60:61], v[66:67]
	v_add_f64_e64 v[60:61], v[60:61], -v[82:83]
	v_mul_f64_e32 v[68:69], s[12:13], v[68:69]
	v_mul_f64_e32 v[78:79], s[8:9], v[78:79]
	;; [unrolled: 1-line block ×5, first 2 shown]
	v_add_f64_e32 v[52:53], v[56:57], v[52:53]
	v_add_f64_e32 v[54:55], v[58:59], v[54:55]
	;; [unrolled: 1-line block ×3, first 2 shown]
	v_mul_f64_e32 v[74:75], s[16:17], v[70:71]
	v_add_f64_e32 v[48:49], v[48:49], v[66:67]
	v_mul_f64_e32 v[82:83], s[16:17], v[60:61]
	v_fma_f64 v[56:57], v[92:93], s[20:21], v[68:69]
	v_fma_f64 v[60:61], v[60:61], s[16:17], v[78:79]
	;; [unrolled: 1-line block ×3, first 2 shown]
	v_fma_f64 v[70:71], v[92:93], s[22:23], -v[84:85]
	v_fma_f64 v[68:69], v[86:87], s[0:1], -v[68:69]
	;; [unrolled: 1-line block ×5, first 2 shown]
	v_fma_f64 v[64:65], v[64:65], s[10:11], v[50:51]
	v_fma_f64 v[72:73], v[72:73], s[14:15], -v[74:75]
	v_fma_f64 v[74:75], v[62:63], s[20:21], v[88:89]
	v_fma_f64 v[62:63], v[62:63], s[22:23], -v[94:95]
	;; [unrolled: 2-line block ×3, first 2 shown]
	v_fma_f64 v[56:57], v[52:53], s[24:25], v[56:57]
	v_fma_f64 v[70:71], v[52:53], s[24:25], v[70:71]
	v_fma_f64 v[52:53], v[52:53], s[24:25], v[68:69]
	v_fma_f64 v[84:85], v[54:55], s[24:25], v[84:85]
	v_add_f64_e32 v[68:69], v[58:59], v[64:65]
	v_add_f64_e32 v[76:77], v[76:77], v[64:65]
	v_fma_f64 v[82:83], v[54:55], s[24:25], v[74:75]
	v_fma_f64 v[86:87], v[54:55], s[24:25], v[62:63]
	v_add_f64_e32 v[88:89], v[60:61], v[66:67]
	v_add_f64_e32 v[78:79], v[78:79], v[66:67]
	v_add_f64_e32 v[64:65], v[72:73], v[64:65]
	v_add_f64_e32 v[60:61], v[80:81], v[66:67]
	v_add_f64_e64 v[74:75], v[68:69], -v[56:57]
	v_add_f64_e32 v[54:55], v[56:57], v[68:69]
	v_add_f64_e32 v[58:59], v[70:71], v[76:77]
	v_add_f64_e64 v[70:71], v[76:77], -v[70:71]
	v_add_f64_e32 v[72:73], v[82:83], v[88:89]
	v_add_f64_e32 v[68:69], v[86:87], v[78:79]
	v_add_f64_e64 v[62:63], v[64:65], -v[52:53]
	v_add_f64_e32 v[66:67], v[52:53], v[64:65]
	v_add_f64_e64 v[64:65], v[60:61], -v[84:85]
	;; [unrolled: 2-line block ×3, first 2 shown]
	v_add_f64_e64 v[52:53], v[88:89], -v[82:83]
	ds_store_b128 v213, v[48:51] offset:896
	ds_store_b128 v213, v[72:75] offset:2432
	;; [unrolled: 1-line block ×7, first 2 shown]
.LBB0_9:
	s_wait_alu 0xfffe
	s_or_b32 exec_lo, exec_lo, s26
	global_wb scope:SCOPE_SE
	s_wait_dscnt 0x0
	s_barrier_signal -1
	s_barrier_wait -1
	global_inv scope:SCOPE_SE
	ds_load_b128 v[48:51], v213
	ds_load_b128 v[52:55], v213 offset:5376
	ds_load_b128 v[56:59], v213 offset:896
	;; [unrolled: 1-line block ×5, first 2 shown]
	v_mad_co_u64_u32 v[96:97], null, s6, v176, 0
	s_mov_b32 s8, 0x18618618
	s_mov_b32 s9, 0x3f586186
	ds_load_b128 v[72:75], v213 offset:7168
	ds_load_b128 v[76:79], v213 offset:8064
	ds_load_b128 v[80:83], v213 offset:3584
	ds_load_b128 v[84:87], v213 offset:8960
	ds_load_b128 v[88:91], v213 offset:4480
	ds_load_b128 v[92:95], v213 offset:9856
	v_mad_co_u64_u32 v[106:107], null, s4, v211, 0
	s_mul_u64 s[0:1], s[4:5], 0x1500
	s_wait_dscnt 0xb
	v_mul_f64_e32 v[98:99], v[26:27], v[50:51]
	v_mul_f64_e32 v[26:27], v[26:27], v[48:49]
	s_wait_dscnt 0xa
	v_mul_f64_e32 v[100:101], v[30:31], v[54:55]
	v_mul_f64_e32 v[30:31], v[30:31], v[52:53]
	;; [unrolled: 3-line block ×7, first 2 shown]
	v_mul_f64_e32 v[116:117], v[14:15], v[78:79]
	v_mul_f64_e32 v[118:119], v[14:15], v[76:77]
	v_mad_co_u64_u32 v[108:109], null, s7, v176, v[97:98]
	v_mul_f64_e32 v[109:110], v[6:7], v[66:67]
	v_mul_f64_e32 v[6:7], v[6:7], v[64:65]
	v_fma_f64 v[48:49], v[24:25], v[48:49], v[98:99]
	v_fma_f64 v[24:25], v[24:25], v[50:51], -v[26:27]
	v_fma_f64 v[26:27], v[28:29], v[52:53], v[100:101]
	v_fma_f64 v[28:29], v[28:29], v[54:55], -v[30:31]
	v_fma_f64 v[30:31], v[16:17], v[56:57], v[102:103]
	v_fma_f64 v[16:17], v[16:17], v[58:59], -v[18:19]
	v_fma_f64 v[18:19], v[20:21], v[60:61], v[104:105]
	v_fma_f64 v[20:21], v[20:21], v[62:63], -v[22:23]
	s_wait_dscnt 0x1
	v_mul_f64_e32 v[22:23], v[42:43], v[90:91]
	v_mul_f64_e32 v[42:43], v[42:43], v[88:89]
	s_wait_dscnt 0x0
	v_mul_f64_e32 v[50:51], v[46:47], v[94:95]
	v_mul_f64_e32 v[46:47], v[46:47], v[92:93]
	v_mad_co_u64_u32 v[111:112], null, s5, v211, v[107:108]
	v_mul_f64_e32 v[112:113], v[10:11], v[74:75]
	v_mul_f64_e32 v[10:11], v[10:11], v[72:73]
	s_delay_alu instid0(VALU_DEP_3) | instskip(NEXT) | instid1(VALU_DEP_1)
	v_mov_b32_e32 v107, v111
	v_lshlrev_b64_e32 v[52:53], 4, v[106:107]
	v_fma_f64 v[54:55], v[4:5], v[64:65], v[109:110]
	v_fma_f64 v[56:57], v[4:5], v[66:67], -v[6:7]
	v_fma_f64 v[66:67], v[0:1], v[68:69], v[114:115]
	v_fma_f64 v[68:69], v[0:1], v[70:71], -v[2:3]
	s_wait_alu 0xfffe
	v_mul_f64_e32 v[4:5], s[8:9], v[26:27]
	scratch_load_b32 v27, off, off th:TH_LOAD_LU ; 4-byte Folded Reload
	v_fma_f64 v[70:71], v[32:33], v[80:81], v[120:121]
	v_fma_f64 v[32:33], v[32:33], v[82:83], -v[34:35]
	v_fma_f64 v[34:35], v[36:37], v[84:85], v[122:123]
	v_fma_f64 v[36:37], v[36:37], v[86:87], -v[38:39]
	;; [unrolled: 2-line block ×4, first 2 shown]
	v_mul_f64_e32 v[0:1], s[8:9], v[48:49]
	v_mul_f64_e32 v[2:3], s[8:9], v[24:25]
	v_fma_f64 v[62:63], v[8:9], v[72:73], v[112:113]
	v_fma_f64 v[64:65], v[8:9], v[74:75], -v[10:11]
	v_mul_f64_e32 v[8:9], s[8:9], v[30:31]
	v_fma_f64 v[30:31], v[12:13], v[76:77], v[116:117]
	v_fma_f64 v[12:13], v[12:13], v[78:79], -v[118:119]
	v_mul_f64_e32 v[6:7], s[8:9], v[28:29]
	v_mul_f64_e32 v[10:11], s[8:9], v[16:17]
	;; [unrolled: 1-line block ×7, first 2 shown]
	s_wait_loadcnt 0x0
	v_mad_co_u64_u32 v[46:47], null, s4, v27, 0
	s_delay_alu instid0(VALU_DEP_1) | instskip(NEXT) | instid1(VALU_DEP_1)
	v_dual_mov_b32 v97, v108 :: v_dual_mov_b32 v26, v47
	v_lshlrev_b64_e32 v[14:15], 4, v[96:97]
	s_delay_alu instid0(VALU_DEP_2) | instskip(NEXT) | instid1(VALU_DEP_2)
	v_mad_co_u64_u32 v[56:57], null, s5, v27, v[26:27]
	v_add_co_u32 v96, vcc_lo, s2, v14
	s_wait_alu 0xfffd
	s_delay_alu instid0(VALU_DEP_3) | instskip(SKIP_1) | instid1(VALU_DEP_2)
	v_add_co_ci_u32_e32 v97, vcc_lo, s3, v15, vcc_lo
	s_movk_i32 s2, 0xee80
	v_add_co_u32 v52, vcc_lo, v96, v52
	s_wait_alu 0xfffd
	s_delay_alu instid0(VALU_DEP_2) | instskip(SKIP_1) | instid1(VALU_DEP_2)
	v_add_co_ci_u32_e32 v53, vcc_lo, v97, v53, vcc_lo
	s_mov_b32 s3, -1
	v_add_co_u32 v58, vcc_lo, v52, s0
	s_wait_alu 0xfffd
	s_delay_alu instid0(VALU_DEP_2)
	v_add_co_ci_u32_e32 v59, vcc_lo, s1, v53, vcc_lo
	s_wait_alu 0xfffe
	s_mul_u64 s[2:3], s[4:5], s[2:3]
	v_mul_f64_e32 v[14:15], s[8:9], v[18:19]
	s_wait_alu 0xfffe
	v_add_co_u32 v60, vcc_lo, v58, s2
	s_wait_alu 0xfffd
	v_add_co_ci_u32_e32 v61, vcc_lo, s3, v59, vcc_lo
	v_mul_f64_e32 v[18:19], s[8:9], v[54:55]
	s_delay_alu instid0(VALU_DEP_3) | instskip(SKIP_1) | instid1(VALU_DEP_3)
	v_add_co_u32 v48, vcc_lo, v60, s0
	s_wait_alu 0xfffd
	v_add_co_ci_u32_e32 v49, vcc_lo, s1, v61, vcc_lo
	v_mul_f64_e32 v[26:27], s[8:9], v[66:67]
	s_delay_alu instid0(VALU_DEP_3) | instskip(SKIP_1) | instid1(VALU_DEP_3)
	v_add_co_u32 v50, vcc_lo, v48, s2
	s_wait_alu 0xfffd
	v_add_co_ci_u32_e32 v51, vcc_lo, s3, v49, vcc_lo
	s_clause 0x2
	global_store_b128 v[52:53], v[0:3], off
	global_store_b128 v[58:59], v[4:7], off
	;; [unrolled: 1-line block ×3, first 2 shown]
	v_mul_f64_e32 v[0:1], s[8:9], v[30:31]
	v_mul_f64_e32 v[2:3], s[8:9], v[12:13]
	v_mad_co_u64_u32 v[54:55], null, 0x380, s4, v[50:51]
	v_mul_f64_e32 v[4:5], s[8:9], v[70:71]
	v_mul_f64_e32 v[6:7], s[8:9], v[32:33]
	;; [unrolled: 1-line block ×6, first 2 shown]
	v_mov_b32_e32 v47, v55
	v_mul_f64_e32 v[34:35], s[8:9], v[42:43]
	v_mul_f64_e32 v[36:37], s[8:9], v[44:45]
	s_clause 0x1
	global_store_b128 v[48:49], v[14:17], off
	global_store_b128 v[50:51], v[18:21], off
	v_mad_co_u64_u32 v[52:53], null, 0x380, s5, v[47:48]
	v_mov_b32_e32 v47, v56
	v_add_co_u32 v14, vcc_lo, v54, s0
	s_delay_alu instid0(VALU_DEP_2) | instskip(NEXT) | instid1(VALU_DEP_4)
	v_lshlrev_b64_e32 v[12:13], 4, v[46:47]
	v_mov_b32_e32 v55, v52
	s_wait_alu 0xfffd
	s_delay_alu instid0(VALU_DEP_1) | instskip(NEXT) | instid1(VALU_DEP_3)
	v_add_co_ci_u32_e32 v15, vcc_lo, s1, v55, vcc_lo
	v_add_co_u32 v12, vcc_lo, v96, v12
	s_wait_alu 0xfffd
	v_add_co_ci_u32_e32 v13, vcc_lo, v97, v13, vcc_lo
	v_add_co_u32 v16, vcc_lo, v14, s2
	s_wait_alu 0xfffd
	v_add_co_ci_u32_e32 v17, vcc_lo, s3, v15, vcc_lo
	global_store_b128 v[12:13], v[22:25], off
	v_add_co_u32 v12, vcc_lo, v16, s0
	s_wait_alu 0xfffd
	v_add_co_ci_u32_e32 v13, vcc_lo, s1, v17, vcc_lo
	global_store_b128 v[54:55], v[26:29], off
	v_add_co_u32 v18, vcc_lo, v12, s2
	s_wait_alu 0xfffd
	v_add_co_ci_u32_e32 v19, vcc_lo, s3, v13, vcc_lo
	s_delay_alu instid0(VALU_DEP_2) | instskip(SKIP_1) | instid1(VALU_DEP_2)
	v_add_co_u32 v20, vcc_lo, v18, s0
	s_wait_alu 0xfffd
	v_add_co_ci_u32_e32 v21, vcc_lo, s1, v19, vcc_lo
	global_store_b128 v[14:15], v[0:3], off
	global_store_b128 v[16:17], v[4:7], off
	;; [unrolled: 1-line block ×5, first 2 shown]
.LBB0_10:
	s_nop 0
	s_sendmsg sendmsg(MSG_DEALLOC_VGPRS)
	s_endpgm
	.section	.rodata,"a",@progbits
	.p2align	6, 0x0
	.amdhsa_kernel bluestein_single_back_len672_dim1_dp_op_CI_CI
		.amdhsa_group_segment_fixed_size 10752
		.amdhsa_private_segment_fixed_size 108
		.amdhsa_kernarg_size 104
		.amdhsa_user_sgpr_count 2
		.amdhsa_user_sgpr_dispatch_ptr 0
		.amdhsa_user_sgpr_queue_ptr 0
		.amdhsa_user_sgpr_kernarg_segment_ptr 1
		.amdhsa_user_sgpr_dispatch_id 0
		.amdhsa_user_sgpr_private_segment_size 0
		.amdhsa_wavefront_size32 1
		.amdhsa_uses_dynamic_stack 0
		.amdhsa_enable_private_segment 1
		.amdhsa_system_sgpr_workgroup_id_x 1
		.amdhsa_system_sgpr_workgroup_id_y 0
		.amdhsa_system_sgpr_workgroup_id_z 0
		.amdhsa_system_sgpr_workgroup_info 0
		.amdhsa_system_vgpr_workitem_id 0
		.amdhsa_next_free_vgpr 256
		.amdhsa_next_free_sgpr 28
		.amdhsa_reserve_vcc 1
		.amdhsa_float_round_mode_32 0
		.amdhsa_float_round_mode_16_64 0
		.amdhsa_float_denorm_mode_32 3
		.amdhsa_float_denorm_mode_16_64 3
		.amdhsa_fp16_overflow 0
		.amdhsa_workgroup_processor_mode 1
		.amdhsa_memory_ordered 1
		.amdhsa_forward_progress 0
		.amdhsa_round_robin_scheduling 0
		.amdhsa_exception_fp_ieee_invalid_op 0
		.amdhsa_exception_fp_denorm_src 0
		.amdhsa_exception_fp_ieee_div_zero 0
		.amdhsa_exception_fp_ieee_overflow 0
		.amdhsa_exception_fp_ieee_underflow 0
		.amdhsa_exception_fp_ieee_inexact 0
		.amdhsa_exception_int_div_zero 0
	.end_amdhsa_kernel
	.text
.Lfunc_end0:
	.size	bluestein_single_back_len672_dim1_dp_op_CI_CI, .Lfunc_end0-bluestein_single_back_len672_dim1_dp_op_CI_CI
                                        ; -- End function
	.section	.AMDGPU.csdata,"",@progbits
; Kernel info:
; codeLenInByte = 16504
; NumSgprs: 30
; NumVgprs: 256
; ScratchSize: 108
; MemoryBound: 0
; FloatMode: 240
; IeeeMode: 1
; LDSByteSize: 10752 bytes/workgroup (compile time only)
; SGPRBlocks: 3
; VGPRBlocks: 31
; NumSGPRsForWavesPerEU: 30
; NumVGPRsForWavesPerEU: 256
; Occupancy: 5
; WaveLimiterHint : 1
; COMPUTE_PGM_RSRC2:SCRATCH_EN: 1
; COMPUTE_PGM_RSRC2:USER_SGPR: 2
; COMPUTE_PGM_RSRC2:TRAP_HANDLER: 0
; COMPUTE_PGM_RSRC2:TGID_X_EN: 1
; COMPUTE_PGM_RSRC2:TGID_Y_EN: 0
; COMPUTE_PGM_RSRC2:TGID_Z_EN: 0
; COMPUTE_PGM_RSRC2:TIDIG_COMP_CNT: 0
	.text
	.p2alignl 7, 3214868480
	.fill 96, 4, 3214868480
	.type	__hip_cuid_863f7968a77debae,@object ; @__hip_cuid_863f7968a77debae
	.section	.bss,"aw",@nobits
	.globl	__hip_cuid_863f7968a77debae
__hip_cuid_863f7968a77debae:
	.byte	0                               ; 0x0
	.size	__hip_cuid_863f7968a77debae, 1

	.ident	"AMD clang version 19.0.0git (https://github.com/RadeonOpenCompute/llvm-project roc-6.4.0 25133 c7fe45cf4b819c5991fe208aaa96edf142730f1d)"
	.section	".note.GNU-stack","",@progbits
	.addrsig
	.addrsig_sym __hip_cuid_863f7968a77debae
	.amdgpu_metadata
---
amdhsa.kernels:
  - .args:
      - .actual_access:  read_only
        .address_space:  global
        .offset:         0
        .size:           8
        .value_kind:     global_buffer
      - .actual_access:  read_only
        .address_space:  global
        .offset:         8
        .size:           8
        .value_kind:     global_buffer
      - .actual_access:  read_only
        .address_space:  global
        .offset:         16
        .size:           8
        .value_kind:     global_buffer
      - .actual_access:  read_only
        .address_space:  global
        .offset:         24
        .size:           8
        .value_kind:     global_buffer
      - .actual_access:  read_only
        .address_space:  global
        .offset:         32
        .size:           8
        .value_kind:     global_buffer
      - .offset:         40
        .size:           8
        .value_kind:     by_value
      - .address_space:  global
        .offset:         48
        .size:           8
        .value_kind:     global_buffer
      - .address_space:  global
        .offset:         56
        .size:           8
        .value_kind:     global_buffer
      - .address_space:  global
        .offset:         64
        .size:           8
        .value_kind:     global_buffer
      - .address_space:  global
        .offset:         72
        .size:           8
        .value_kind:     global_buffer
      - .offset:         80
        .size:           4
        .value_kind:     by_value
      - .address_space:  global
        .offset:         88
        .size:           8
        .value_kind:     global_buffer
      - .address_space:  global
        .offset:         96
        .size:           8
        .value_kind:     global_buffer
    .group_segment_fixed_size: 10752
    .kernarg_segment_align: 8
    .kernarg_segment_size: 104
    .language:       OpenCL C
    .language_version:
      - 2
      - 0
    .max_flat_workgroup_size: 56
    .name:           bluestein_single_back_len672_dim1_dp_op_CI_CI
    .private_segment_fixed_size: 108
    .sgpr_count:     30
    .sgpr_spill_count: 0
    .symbol:         bluestein_single_back_len672_dim1_dp_op_CI_CI.kd
    .uniform_work_group_size: 1
    .uses_dynamic_stack: false
    .vgpr_count:     256
    .vgpr_spill_count: 26
    .wavefront_size: 32
    .workgroup_processor_mode: 1
amdhsa.target:   amdgcn-amd-amdhsa--gfx1201
amdhsa.version:
  - 1
  - 2
...

	.end_amdgpu_metadata
